;; amdgpu-corpus repo=ROCm/rocFFT kind=compiled arch=gfx1030 opt=O3
	.text
	.amdgcn_target "amdgcn-amd-amdhsa--gfx1030"
	.amdhsa_code_object_version 6
	.protected	bluestein_single_fwd_len2560_dim1_sp_op_CI_CI ; -- Begin function bluestein_single_fwd_len2560_dim1_sp_op_CI_CI
	.globl	bluestein_single_fwd_len2560_dim1_sp_op_CI_CI
	.p2align	8
	.type	bluestein_single_fwd_len2560_dim1_sp_op_CI_CI,@function
bluestein_single_fwd_len2560_dim1_sp_op_CI_CI: ; @bluestein_single_fwd_len2560_dim1_sp_op_CI_CI
; %bb.0:
	s_load_dwordx4 s[12:15], s[4:5], 0x28
	s_mov_b32 s7, 0
	s_mov_b32 s1, exec_lo
	s_waitcnt lgkmcnt(0)
	v_cmpx_lt_u64_e64 s[6:7], s[12:13]
	s_cbranch_execz .LBB0_2
; %bb.1:
	s_clause 0x1
	s_load_dwordx4 s[0:3], s[4:5], 0x18
	s_load_dwordx4 s[8:11], s[4:5], 0x0
	v_mov_b32_e32 v118, s7
	v_mov_b32_e32 v117, s6
	v_lshlrev_b32_e32 v136, 3, v0
	v_or_b32_e32 v1, 0x100, v0
	v_or_b32_e32 v3, 0x200, v0
	;; [unrolled: 1-line block ×3, first 2 shown]
	v_lshlrev_b32_e32 v137, 5, v0
	v_or_b32_e32 v50, 0x1400, v136
	v_lshlrev_b32_e32 v57, 3, v1
	v_or_b32_e32 v62, 0x1c00, v136
	v_or_b32_e32 v51, 0x4800, v136
	;; [unrolled: 1-line block ×4, first 2 shown]
	v_lshlrev_b32_e32 v53, 3, v3
	v_or_b32_e32 v47, 0x3c00, v136
	v_or_b32_e32 v64, 0x4400, v136
	v_lshlrev_b32_e32 v55, 3, v2
	v_or_b32_e32 v49, 0x2000, v136
	s_waitcnt lgkmcnt(0)
	s_load_dwordx4 s[16:19], s[0:1], 0x0
	s_add_u32 s6, s8, 0x5000
	s_addc_u32 s7, s9, 0
	v_or_b32_e32 v59, 0x1800, v136
	v_or_b32_e32 v63, 0x2c00, v136
	;; [unrolled: 1-line block ×4, first 2 shown]
	s_clause 0x10
	global_load_dwordx2 v[113:114], v50, s[8:9]
	global_load_dwordx2 v[111:112], v60, s[8:9]
	;; [unrolled: 1-line block ×4, first 2 shown]
	global_load_dwordx2 v[109:110], v136, s[8:9] offset:1024
	global_load_dwordx2 v[105:106], v59, s[8:9]
	global_load_dwordx2 v[103:104], v63, s[8:9]
	;; [unrolled: 1-line block ×12, first 2 shown]
	v_or_b32_e32 v54, 0x2400, v136
	v_or_b32_e32 v48, 0x3800, v136
	;; [unrolled: 1-line block ×3, first 2 shown]
	v_lshlrev_b32_e32 v138, 5, v1
	v_lshlrev_b32_e32 v139, 5, v2
	global_load_dwordx2 v[77:78], v54, s[8:9]
	v_lshlrev_b32_e32 v140, 5, v3
	s_waitcnt lgkmcnt(0)
	v_mad_u64_u32 v[4:5], null, s18, v117, 0
	v_mad_u64_u32 v[6:7], null, s16, v0, 0
	s_mul_i32 s0, s17, 0x1400
	s_mul_hi_u32 s1, s16, 0x1400
	s_mul_i32 s12, s16, 0x1400
	s_add_i32 s1, s1, s0
	s_mul_i32 s13, s17, 0xffffc800
	s_mul_i32 s18, s16, 0xffffc800
	v_mad_u64_u32 v[8:9], null, s19, v117, v[5:6]
	v_mad_u64_u32 v[9:10], null, s17, v0, v[7:8]
	v_mov_b32_e32 v5, v8
	s_mul_hi_u32 s17, s16, 0xffffc800
	s_sub_i32 s0, s17, s16
	v_lshlrev_b64 v[4:5], 3, v[4:5]
	v_mov_b32_e32 v7, v9
	s_add_i32 s0, s0, s13
	v_add_co_u32 v4, vcc_lo, s14, v4
	v_lshlrev_b64 v[6:7], 3, v[6:7]
	v_add_co_ci_u32_e32 v5, vcc_lo, s15, v5, vcc_lo
	v_add_co_u32 v4, vcc_lo, v4, v6
	v_add_co_ci_u32_e32 v5, vcc_lo, v5, v7, vcc_lo
	v_add_co_u32 v6, vcc_lo, v4, s12
	v_add_co_ci_u32_e32 v7, vcc_lo, s1, v5, vcc_lo
	global_load_dwordx2 v[4:5], v[4:5], off
	v_add_co_u32 v8, vcc_lo, v6, s12
	v_add_co_ci_u32_e32 v9, vcc_lo, s1, v7, vcc_lo
	global_load_dwordx2 v[6:7], v[6:7], off
	;; [unrolled: 3-line block ×18, first 2 shown]
	v_add_co_u32 v42, vcc_lo, v24, s12
	v_add_co_ci_u32_e32 v43, vcc_lo, s1, v25, vcc_lo
	global_load_dwordx2 v[83:84], v48, s[8:9]
	global_load_dwordx2 v[44:45], v[24:25], off
	global_load_dwordx2 v[85:86], v52, s[8:9]
	global_load_dwordx2 v[42:43], v[42:43], off
	s_load_dwordx4 s[0:3], s[2:3], 0x0
	v_or_b32_e32 v25, 0x80, v0
	v_lshlrev_b32_e32 v142, 5, v25
	s_waitcnt lgkmcnt(0)
	s_mul_i32 s9, s1, 0xffffc800
	s_mul_hi_u32 s12, s0, 0xffffc800
	s_mul_i32 s8, s0, 0xffffc800
	s_waitcnt vmcnt(21)
	v_mul_f32_e32 v65, v5, v116
	v_mul_f32_e32 v24, v4, v116
	s_waitcnt vmcnt(20)
	v_mul_f32_e32 v67, v7, v114
	v_mul_f32_e32 v46, v6, v114
	v_fmac_f32_e32 v65, v4, v115
	v_fma_f32 v66, v5, v115, -v24
	v_fmac_f32_e32 v67, v6, v113
	v_fma_f32 v68, v7, v113, -v46
	s_waitcnt vmcnt(19)
	v_mul_f32_e32 v4, v9, v112
	v_mul_f32_e32 v5, v8, v112
	s_waitcnt vmcnt(18)
	v_mul_f32_e32 v6, v11, v108
	v_mul_f32_e32 v7, v10, v108
	v_fmac_f32_e32 v4, v8, v111
	v_fma_f32 v5, v9, v111, -v5
	v_fmac_f32_e32 v6, v10, v107
	v_fma_f32 v7, v11, v107, -v7
	s_waitcnt vmcnt(17)
	v_mul_f32_e32 v8, v13, v110
	v_mul_f32_e32 v24, v12, v110
	v_fmac_f32_e32 v8, v12, v109
	v_fma_f32 v9, v13, v109, -v24
	s_waitcnt vmcnt(16)
	v_mul_f32_e32 v12, v15, v106
	s_waitcnt vmcnt(15)
	v_mul_f32_e32 v10, v17, v104
	v_mul_f32_e32 v11, v16, v104
	;; [unrolled: 1-line block ×3, first 2 shown]
	ds_write2st64_b64 v136, v[65:66], v[8:9] offset1:2
	v_fmac_f32_e32 v12, v14, v105
	v_fmac_f32_e32 v10, v16, v103
	v_fma_f32 v11, v17, v103, -v11
	v_fma_f32 v13, v15, v105, -v13
	s_waitcnt vmcnt(14)
	v_mul_f32_e32 v8, v19, v100
	v_mul_f32_e32 v9, v18, v100
	v_and_b32_e32 v24, 3, v0
	ds_write2st64_b64 v136, v[4:5], v[10:11] offset0:20 offset1:22
	s_waitcnt vmcnt(13)
	v_mul_f32_e32 v4, v21, v102
	v_mul_f32_e32 v5, v20, v102
	v_fmac_f32_e32 v8, v18, v99
	s_waitcnt vmcnt(12)
	v_mul_f32_e32 v10, v23, v98
	v_mul_f32_e32 v11, v22, v98
	v_fmac_f32_e32 v4, v20, v101
	v_fma_f32 v5, v21, v101, -v5
	v_fma_f32 v9, v19, v99, -v9
	v_fmac_f32_e32 v10, v22, v97
	v_fma_f32 v11, v23, v97, -v11
	s_waitcnt vmcnt(11)
	v_mul_f32_e32 v16, v29, v96
	v_mul_f32_e32 v17, v28, v96
	v_mad_u64_u32 v[69:70], null, v24, 24, s[10:11]
	ds_write2st64_b64 v136, v[12:13], v[10:11] offset0:12 offset1:14
	s_waitcnt vmcnt(10)
	v_mul_f32_e32 v14, v27, v94
	v_mul_f32_e32 v15, v26, v94
	v_fmac_f32_e32 v16, v28, v95
	s_waitcnt vmcnt(9)
	v_mul_f32_e32 v10, v33, v90
	v_mul_f32_e32 v11, v32, v90
	v_fmac_f32_e32 v14, v26, v93
	v_fma_f32 v15, v27, v93, -v15
	v_fma_f32 v17, v29, v95, -v17
	v_fmac_f32_e32 v10, v32, v89
	v_fma_f32 v11, v33, v89, -v11
	ds_write2st64_b64 v136, v[8:9], v[14:15] offset0:32 offset1:34
	s_waitcnt vmcnt(8)
	v_mul_f32_e32 v8, v31, v92
	s_waitcnt vmcnt(7)
	v_mul_f32_e32 v12, v37, v88
	ds_write2st64_b64 v136, v[4:5], v[10:11] offset0:4 offset1:6
	v_mul_f32_e32 v5, v36, v88
	v_mul_f32_e32 v9, v30, v92
	v_fmac_f32_e32 v8, v30, v91
	s_waitcnt vmcnt(6)
	v_mul_f32_e32 v4, v35, v82
	v_fmac_f32_e32 v12, v36, v87
	v_fma_f32 v13, v37, v87, -v5
	v_mul_f32_e32 v5, v34, v82
	v_fma_f32 v9, v31, v91, -v9
	s_waitcnt vmcnt(5)
	v_mul_f32_e32 v10, v41, v80
	v_mul_f32_e32 v11, v40, v80
	v_fmac_f32_e32 v4, v34, v81
	v_fma_f32 v5, v35, v81, -v5
	s_waitcnt vmcnt(4)
	v_mul_f32_e32 v14, v39, v78
	v_mul_f32_e32 v15, v38, v78
	v_fmac_f32_e32 v10, v40, v79
	s_waitcnt vmcnt(2)
	v_mul_f32_e32 v18, v45, v84
	v_mul_f32_e32 v19, v44, v84
	s_waitcnt vmcnt(0)
	v_mul_f32_e32 v20, v43, v86
	v_mul_f32_e32 v21, v42, v86
	v_fma_f32 v11, v41, v79, -v11
	v_fmac_f32_e32 v14, v38, v77
	v_fma_f32 v15, v39, v77, -v15
	v_fmac_f32_e32 v18, v44, v83
	v_fma_f32 v19, v45, v83, -v19
	v_fmac_f32_e32 v20, v42, v85
	v_fma_f32 v21, v43, v85, -v21
	ds_write2st64_b64 v136, v[16:17], v[12:13] offset0:24 offset1:26
	ds_write2st64_b64 v136, v[10:11], v[67:68] offset0:8 offset1:10
	;; [unrolled: 1-line block ×5, first 2 shown]
	s_waitcnt lgkmcnt(0)
	s_barrier
	buffer_gl0_inv
	ds_read2st64_b64 v[4:7], v136 offset1:2
	ds_read2st64_b64 v[8:11], v136 offset0:20 offset1:22
	ds_read2st64_b64 v[12:15], v136 offset0:8 offset1:10
	;; [unrolled: 1-line block ×9, first 2 shown]
	s_waitcnt lgkmcnt(0)
	s_barrier
	buffer_gl0_inv
	v_sub_f32_e32 v46, v4, v8
	v_sub_f32_e32 v65, v5, v9
	;; [unrolled: 1-line block ×20, first 2 shown]
	v_fma_f32 v4, v4, 2.0, -v46
	v_fma_f32 v5, v5, 2.0, -v65
	;; [unrolled: 1-line block ×8, first 2 shown]
	v_sub_f32_e32 v14, v10, v19
	v_add_f32_e32 v15, v11, v18
	v_fma_f32 v72, v30, 2.0, -v26
	v_fma_f32 v73, v31, 2.0, -v27
	;; [unrolled: 1-line block ×4, first 2 shown]
	v_sub_f32_e32 v18, v26, v29
	v_add_f32_e32 v19, v27, v28
	v_fma_f32 v74, v32, 2.0, -v34
	v_fma_f32 v75, v33, 2.0, -v35
	;; [unrolled: 1-line block ×8, first 2 shown]
	v_sub_f32_e32 v8, v46, v8
	v_add_f32_e32 v9, v65, v9
	v_sub_f32_e32 v22, v34, v37
	v_add_f32_e32 v23, v35, v36
	;; [unrolled: 2-line block ×3, first 2 shown]
	v_sub_f32_e32 v6, v4, v44
	v_sub_f32_e32 v7, v5, v45
	;; [unrolled: 1-line block ×6, first 2 shown]
	v_fma_f32 v40, v26, 2.0, -v18
	v_fma_f32 v41, v27, 2.0, -v19
	v_sub_f32_e32 v20, v74, v38
	v_sub_f32_e32 v21, v75, v39
	;; [unrolled: 1-line block ×4, first 2 shown]
	v_fma_f32 v32, v46, 2.0, -v8
	v_fma_f32 v33, v65, 2.0, -v9
	v_fma_f32 v36, v10, 2.0, -v14
	v_fma_f32 v37, v11, 2.0, -v15
	v_fma_f32 v44, v34, 2.0, -v22
	v_fma_f32 v45, v35, 2.0, -v23
	v_fma_f32 v67, v42, 2.0, -v28
	v_fma_f32 v68, v43, 2.0, -v29
	v_fma_f32 v30, v4, 2.0, -v6
	v_fma_f32 v31, v5, 2.0, -v7
	v_fma_f32 v34, v66, 2.0, -v12
	v_fma_f32 v35, v71, 2.0, -v13
	v_fma_f32 v38, v72, 2.0, -v16
	v_fma_f32 v39, v73, 2.0, -v17
	v_fma_f32 v42, v74, 2.0, -v20
	v_fma_f32 v43, v75, 2.0, -v21
	v_fma_f32 v65, v76, 2.0, -v26
	v_fma_f32 v66, v118, 2.0, -v27
	ds_write_b128 v137, v[6:9] offset:16
	ds_write_b128 v142, v[12:15] offset:16
	;; [unrolled: 1-line block ×5, first 2 shown]
	ds_write_b128 v137, v[30:33]
	ds_write_b128 v137, v[34:37] offset:4096
	ds_write_b128 v137, v[38:41] offset:8192
	;; [unrolled: 1-line block ×4, first 2 shown]
	s_waitcnt lgkmcnt(0)
	s_barrier
	buffer_gl0_inv
	s_clause 0x1
	global_load_dwordx4 v[17:20], v[69:70], off
	global_load_dwordx2 v[118:119], v[69:70], off offset:16
	v_lshlrev_b32_e32 v4, 2, v0
	v_lshlrev_b32_e32 v72, 2, v3
	;; [unrolled: 1-line block ×5, first 2 shown]
	v_and_or_b32 v5, 0x1f0, v4, v24
	v_and_or_b32 v26, 0x9f0, v72, v24
	v_and_or_b32 v1, 0x3f0, v69, v24
	v_and_or_b32 v2, 0x5f0, v70, v24
	v_and_or_b32 v3, 0x7f0, v71, v24
	v_lshlrev_b32_e32 v141, 3, v5
	ds_read2st64_b64 v[5:8], v136 offset0:8 offset1:10
	ds_read2st64_b64 v[9:12], v136 offset0:20 offset1:22
	ds_read2st64_b64 v[13:16], v136 offset0:28 offset1:30
	ds_read2st64_b64 v[21:24], v136 offset0:12 offset1:14
	v_lshlrev_b32_e32 v146, 3, v26
	ds_read2st64_b64 v[26:29], v136 offset0:32 offset1:34
	ds_read2st64_b64 v[30:33], v136 offset1:2
	ds_read2st64_b64 v[34:37], v136 offset0:4 offset1:6
	ds_read2st64_b64 v[38:41], v136 offset0:24 offset1:26
	;; [unrolled: 1-line block ×4, first 2 shown]
	v_lshlrev_b32_e32 v145, 3, v3
	v_and_b32_e32 v46, 15, v0
	v_lshlrev_b32_e32 v143, 3, v1
	v_lshlrev_b32_e32 v144, 3, v2
	s_waitcnt vmcnt(0) lgkmcnt(0)
	s_barrier
	v_mad_u64_u32 v[1:2], null, v46, 24, s[10:11]
	buffer_gl0_inv
	v_lshrrev_b32_e32 v25, 6, v25
	v_mul_u32_u24_e32 v25, 0x280, v25
	v_mul_f32_e32 v3, v8, v18
	v_mul_f32_e32 v73, v7, v18
	;; [unrolled: 1-line block ×30, first 2 shown]
	v_fma_f32 v9, v9, v19, -v74
	v_fmac_f32_e32 v75, v10, v19
	v_fma_f32 v10, v11, v19, -v123
	v_fmac_f32_e32 v124, v12, v19
	;; [unrolled: 2-line block ×15, first 2 shown]
	v_sub_f32_e32 v26, v30, v9
	v_sub_f32_e32 v27, v31, v75
	;; [unrolled: 1-line block ×20, first 2 shown]
	v_fma_f32 v66, v30, 2.0, -v26
	v_fma_f32 v67, v31, 2.0, -v27
	v_fma_f32 v3, v3, 2.0, -v9
	v_fma_f32 v30, v73, 2.0, -v7
	v_sub_f32_e32 v7, v26, v7
	v_add_f32_e32 v8, v27, v9
	v_fma_f32 v68, v32, 2.0, -v28
	v_fma_f32 v73, v33, 2.0, -v29
	;; [unrolled: 1-line block ×4, first 2 shown]
	v_sub_f32_e32 v9, v28, v38
	v_add_f32_e32 v10, v29, v10
	v_fma_f32 v74, v34, 2.0, -v39
	v_fma_f32 v75, v35, 2.0, -v40
	;; [unrolled: 1-line block ×12, first 2 shown]
	v_sub_f32_e32 v11, v39, v16
	v_add_f32_e32 v12, v40, v15
	v_sub_f32_e32 v13, v41, v23
	v_add_f32_e32 v14, v42, v22
	;; [unrolled: 2-line block ×3, first 2 shown]
	v_sub_f32_e32 v15, v66, v3
	v_sub_f32_e32 v16, v67, v30
	v_fma_f32 v21, v26, 2.0, -v7
	v_fma_f32 v22, v27, 2.0, -v8
	v_sub_f32_e32 v23, v68, v31
	v_sub_f32_e32 v24, v73, v32
	v_fma_f32 v26, v28, 2.0, -v9
	v_fma_f32 v27, v29, 2.0, -v10
	v_sub_f32_e32 v28, v74, v33
	v_sub_f32_e32 v29, v75, v34
	v_sub_f32_e32 v32, v76, v35
	v_sub_f32_e32 v33, v120, v36
	v_sub_f32_e32 v36, v121, v37
	v_sub_f32_e32 v37, v122, v38
	v_fma_f32 v30, v39, 2.0, -v11
	v_fma_f32 v31, v40, 2.0, -v12
	;; [unrolled: 1-line block ×16, first 2 shown]
	ds_write2_b64 v141, v[15:16], v[7:8] offset0:8 offset1:12
	ds_write2_b64 v143, v[23:24], v[9:10] offset0:8 offset1:12
	;; [unrolled: 1-line block ×5, first 2 shown]
	ds_write2_b64 v141, v[40:41], v[21:22] offset1:4
	ds_write2_b64 v143, v[42:43], v[26:27] offset1:4
	;; [unrolled: 1-line block ×5, first 2 shown]
	s_waitcnt lgkmcnt(0)
	s_barrier
	buffer_gl0_inv
	s_clause 0x1
	global_load_dwordx4 v[21:24], v[1:2], off offset:96
	global_load_dwordx2 v[122:123], v[1:2], off offset:112
	v_and_or_b32 v1, 0x1c0, v4, v46
	v_and_or_b32 v9, 0x3c0, v69, v46
	;; [unrolled: 1-line block ×5, first 2 shown]
	v_lshlrev_b32_e32 v147, 3, v1
	ds_read2st64_b64 v[1:4], v136 offset0:8 offset1:10
	ds_read2st64_b64 v[5:8], v136 offset0:20 offset1:22
	v_lshlrev_b32_e32 v148, 3, v9
	ds_read2st64_b64 v[9:12], v136 offset0:28 offset1:30
	v_lshlrev_b32_e32 v149, 3, v13
	;; [unrolled: 2-line block ×3, first 2 shown]
	v_lshlrev_b32_e32 v151, 3, v28
	ds_read2st64_b64 v[27:30], v136 offset0:32 offset1:34
	ds_read2st64_b64 v[31:34], v136 offset1:2
	ds_read2st64_b64 v[35:38], v136 offset0:4 offset1:6
	ds_read2st64_b64 v[39:42], v136 offset0:24 offset1:26
	;; [unrolled: 1-line block ×4, first 2 shown]
	v_and_b32_e32 v26, 63, v0
	s_waitcnt vmcnt(0) lgkmcnt(0)
	s_barrier
	buffer_gl0_inv
	v_mad_u64_u32 v[69:70], null, 0x48, v26, s[10:11]
	v_or_b32_e32 v25, v25, v26
	v_mul_f32_e32 v71, v4, v22
	v_mul_f32_e32 v72, v3, v22
	;; [unrolled: 1-line block ×30, first 2 shown]
	v_fma_f32 v5, v5, v23, -v73
	v_fmac_f32_e32 v74, v6, v23
	v_fma_f32 v6, v7, v23, -v124
	v_fmac_f32_e32 v125, v8, v23
	;; [unrolled: 2-line block ×15, first 2 shown]
	v_sub_f32_e32 v28, v31, v5
	v_sub_f32_e32 v29, v32, v74
	;; [unrolled: 1-line block ×20, first 2 shown]
	v_fma_f32 v66, v31, 2.0, -v28
	v_fma_f32 v67, v32, 2.0, -v29
	;; [unrolled: 1-line block ×4, first 2 shown]
	v_sub_f32_e32 v3, v28, v5
	v_add_f32_e32 v4, v29, v4
	v_fma_f32 v68, v33, 2.0, -v30
	v_fma_f32 v71, v34, 2.0, -v39
	;; [unrolled: 1-line block ×4, first 2 shown]
	v_sub_f32_e32 v5, v30, v11
	v_fma_f32 v72, v35, 2.0, -v40
	v_fma_f32 v73, v36, 2.0, -v41
	;; [unrolled: 1-line block ×12, first 2 shown]
	v_add_f32_e32 v6, v39, v6
	v_sub_f32_e32 v7, v40, v13
	v_add_f32_e32 v8, v41, v12
	v_sub_f32_e32 v9, v42, v16
	;; [unrolled: 2-line block ×4, first 2 shown]
	v_sub_f32_e32 v12, v67, v32
	v_fma_f32 v14, v29, 2.0, -v4
	v_sub_f32_e32 v15, v68, v33
	v_sub_f32_e32 v16, v71, v34
	v_fma_f32 v27, v30, 2.0, -v5
	v_sub_f32_e32 v29, v72, v35
	v_sub_f32_e32 v30, v73, v36
	;; [unrolled: 1-line block ×6, first 2 shown]
	v_fma_f32 v13, v28, 2.0, -v3
	v_fma_f32 v28, v39, 2.0, -v6
	;; [unrolled: 1-line block ×18, first 2 shown]
	ds_write2_b64 v147, v[11:12], v[3:4] offset0:32 offset1:48
	ds_write2_b64 v148, v[15:16], v[5:6] offset0:32 offset1:48
	;; [unrolled: 1-line block ×5, first 2 shown]
	ds_write2_b64 v147, v[41:42], v[13:14] offset1:16
	ds_write2_b64 v148, v[43:44], v[27:28] offset1:16
	;; [unrolled: 1-line block ×5, first 2 shown]
	s_waitcnt lgkmcnt(0)
	s_barrier
	buffer_gl0_inv
	s_clause 0x4
	global_load_dwordx4 v[13:16], v[69:70], off offset:480
	global_load_dwordx4 v[9:12], v[69:70], off offset:496
	;; [unrolled: 1-line block ×4, first 2 shown]
	global_load_dwordx2 v[120:121], v[69:70], off offset:544
	ds_read2st64_b64 v[31:34], v136 offset0:4 offset1:6
	ds_read2st64_b64 v[35:38], v136 offset0:8 offset1:10
	v_lshrrev_b32_e32 v27, 6, v0
	ds_read2st64_b64 v[39:42], v136 offset0:12 offset1:14
	ds_read2st64_b64 v[65:68], v136 offset0:16 offset1:18
	ds_read2st64_b64 v[69:72], v136 offset1:2
	ds_read2st64_b64 v[73:76], v136 offset0:20 offset1:22
	ds_read2st64_b64 v[124:127], v136 offset0:24 offset1:26
	;; [unrolled: 1-line block ×5, first 2 shown]
	v_mad_u64_u32 v[45:46], null, v0, 24, s[10:11]
	v_mul_u32_u24_e32 v27, 0x280, v27
	v_lshlrev_b32_e32 v152, 3, v25
	s_waitcnt vmcnt(0) lgkmcnt(0)
	s_barrier
	buffer_gl0_inv
	v_or_b32_e32 v27, v27, v26
	v_add_co_u32 v25, vcc_lo, 0x1000, v45
	v_add_co_ci_u32_e32 v26, vcc_lo, 0, v46, vcc_lo
	v_lshlrev_b32_e32 v153, 3, v27
	v_add_co_u32 v29, vcc_lo, 0x1800, v45
	v_add_co_ci_u32_e32 v30, vcc_lo, 0, v46, vcc_lo
	v_add_co_u32 v43, vcc_lo, 0x2800, v45
	v_add_co_ci_u32_e32 v44, vcc_lo, 0, v46, vcc_lo
	s_mul_i32 s10, s1, 0x1400
	s_mul_hi_u32 s11, s0, 0x1400
	v_mul_f32_e32 v27, v32, v14
	v_mul_f32_e32 v158, v31, v14
	;; [unrolled: 1-line block ×19, first 2 shown]
	v_fma_f32 v187, v31, v13, -v27
	v_mul_f32_e32 v27, v154, v121
	v_mul_f32_e32 v31, v135, v4
	v_mul_f32_e32 v169, v41, v10
	v_mul_f32_e32 v173, v67, v12
	v_mul_f32_e32 v174, v125, v8
	v_mul_f32_e32 v175, v124, v8
	v_mul_f32_e32 v182, v133, v4
	v_mul_f32_e32 v183, v132, v4
	v_mul_f32_e32 v168, v42, v10
	v_mul_f32_e32 v176, v76, v6
	v_mul_f32_e32 v184, v131, v2
	v_fmac_f32_e32 v158, v32, v13
	v_fma_f32 v160, v33, v13, -v160
	v_fmac_f32_e32 v161, v34, v13
	v_mul_f32_e32 v32, v134, v4
	v_mul_f32_e32 v33, v157, v121
	v_fma_f32 v28, v35, v15, -v28
	v_fmac_f32_e32 v159, v36, v15
	v_fma_f32 v34, v37, v15, -v164
	v_fmac_f32_e32 v165, v38, v15
	v_mul_f32_e32 v35, v156, v121
	v_fma_f32 v36, v39, v9, -v162
	v_fmac_f32_e32 v163, v40, v9
	v_fma_f32 v38, v65, v11, -v166
	v_fmac_f32_e32 v167, v66, v11
	v_fma_f32 v39, v67, v11, -v172
	v_fma_f32 v40, v73, v5, -v170
	v_fmac_f32_e32 v171, v74, v5
	v_fma_f32 v65, v126, v7, -v180
	;; [unrolled: 3-line block ×3, first 2 shown]
	v_fma_f32 v73, v154, v120, -v186
	v_fmac_f32_e32 v27, v155, v120
	v_mul_f32_e32 v181, v126, v8
	v_mul_f32_e32 v185, v130, v2
	v_fmac_f32_e32 v169, v42, v9
	v_fmac_f32_e32 v173, v68, v11
	v_fma_f32 v42, v124, v7, -v174
	v_fmac_f32_e32 v175, v125, v7
	v_fma_f32 v68, v132, v3, -v182
	v_fmac_f32_e32 v183, v133, v3
	v_mul_f32_e32 v177, v75, v6
	v_fma_f32 v37, v41, v9, -v168
	v_fma_f32 v41, v75, v5, -v176
	;; [unrolled: 1-line block ×3, first 2 shown]
	v_fmac_f32_e32 v32, v135, v3
	v_fma_f32 v33, v156, v120, -v33
	v_fmac_f32_e32 v35, v157, v120
	v_add_f32_e32 v135, v36, v73
	v_sub_f32_e32 v154, v40, v36
	v_sub_f32_e32 v156, v66, v73
	v_add_f32_e32 v157, v40, v66
	v_sub_f32_e32 v164, v163, v171
	v_sub_f32_e32 v170, v27, v179
	;; [unrolled: 1-line block ×6, first 2 shown]
	v_fmac_f32_e32 v181, v127, v7
	v_fmac_f32_e32 v185, v131, v1
	v_sub_f32_e32 v125, v28, v38
	v_sub_f32_e32 v127, v38, v28
	;; [unrolled: 1-line block ×8, first 2 shown]
	v_fmac_f32_e32 v177, v76, v5
	v_add_f32_e32 v76, v187, v36
	v_fma_f32 v157, -0.5, v157, v187
	v_fmac_f32_e32 v187, -0.5, v135
	v_sub_f32_e32 v135, v37, v41
	v_add_f32_e32 v154, v154, v156
	v_sub_f32_e32 v156, v33, v67
	v_add_f32_e32 v164, v164, v170
	v_add_f32_e32 v170, v41, v67
	;; [unrolled: 1-line block ×3, first 2 shown]
	v_sub_f32_e32 v176, v41, v37
	v_add_f32_e32 v178, v178, v180
	v_sub_f32_e32 v180, v67, v33
	v_add_f32_e32 v75, v70, v159
	v_sub_f32_e32 v166, v171, v163
	v_sub_f32_e32 v172, v179, v27
	;; [unrolled: 1-line block ×4, first 2 shown]
	v_add_f32_e32 v162, v171, v179
	v_add_f32_e32 v168, v163, v27
	;; [unrolled: 1-line block ×7, first 2 shown]
	v_sub_f32_e32 v133, v173, v165
	v_add_f32_e32 v134, v134, v155
	v_sub_f32_e32 v155, v181, v32
	v_add_f32_e32 v74, v69, v28
	v_add_f32_e32 v135, v135, v156
	v_fma_f32 v156, -0.5, v170, v160
	v_add_f32_e32 v170, v176, v180
	v_sub_f32_e32 v176, v177, v169
	v_sub_f32_e32 v180, v185, v35
	v_add_f32_e32 v124, v158, v163
	v_add_f32_e32 v166, v166, v172
	;; [unrolled: 1-line block ×5, first 2 shown]
	v_sub_f32_e32 v182, v165, v173
	v_sub_f32_e32 v184, v32, v181
	v_add_f32_e32 v130, v130, v132
	v_add_f32_e32 v132, v72, v165
	v_fma_f32 v162, -0.5, v162, v158
	v_fmac_f32_e32 v158, -0.5, v168
	v_add_f32_e32 v168, v37, v33
	v_fma_f32 v186, -0.5, v128, v72
	v_fmac_f32_e32 v72, -0.5, v129
	v_add_f32_e32 v129, v133, v155
	v_add_f32_e32 v133, v177, v185
	;; [unrolled: 1-line block ×6, first 2 shown]
	v_sub_f32_e32 v180, v167, v175
	v_add_f32_e32 v167, v167, v175
	v_add_f32_e32 v75, v75, v175
	;; [unrolled: 1-line block ×4, first 2 shown]
	v_sub_f32_e32 v171, v171, v179
	v_add_f32_e32 v172, v172, v41
	v_add_f32_e32 v182, v182, v184
	v_sub_f32_e32 v184, v169, v177
	v_sub_f32_e32 v128, v35, v185
	v_fmac_f32_e32 v160, -0.5, v168
	v_add_f32_e32 v168, v161, v169
	v_fma_f32 v133, -0.5, v133, v161
	v_fmac_f32_e32 v161, -0.5, v155
	v_add_f32_e32 v155, v38, v42
	v_sub_f32_e32 v40, v40, v66
	v_add_f32_e32 v66, v76, v66
	v_add_f32_e32 v76, v39, v65
	v_fma_f32 v126, -0.5, v126, v69
	v_sub_f32_e32 v28, v28, v68
	v_sub_f32_e32 v38, v38, v42
	v_add_f32_e32 v42, v74, v42
	v_sub_f32_e32 v74, v159, v183
	v_add_f32_e32 v159, v159, v183
	v_sub_f32_e32 v36, v36, v73
	v_sub_f32_e32 v163, v163, v27
	v_add_f32_e32 v132, v132, v173
	v_fma_f32 v167, -0.5, v167, v70
	v_add_f32_e32 v175, v175, v39
	v_sub_f32_e32 v41, v41, v67
	v_add_f32_e32 v67, v172, v67
	v_fmamk_f32 v172, v171, 0xbf737871, v187
	v_fmac_f32_e32 v187, 0x3f737871, v171
	v_add_f32_e32 v128, v184, v128
	v_add_f32_e32 v168, v168, v177
	v_sub_f32_e32 v177, v177, v185
	v_add_f32_e32 v124, v124, v179
	v_add_f32_e32 v179, v34, v31
	v_fma_f32 v155, -0.5, v155, v69
	v_fma_f32 v184, -0.5, v76, v71
	v_fmamk_f32 v76, v180, 0xbf737871, v126
	v_fmac_f32_e32 v126, 0x3f737871, v180
	v_sub_f32_e32 v34, v34, v31
	v_sub_f32_e32 v37, v37, v33
	;; [unrolled: 1-line block ×3, first 2 shown]
	v_fma_f32 v159, -0.5, v159, v70
	v_add_f32_e32 v69, v132, v181
	v_fmamk_f32 v132, v28, 0xbf737871, v167
	v_fmac_f32_e32 v167, 0x3f737871, v28
	v_add_f32_e32 v42, v42, v68
	v_fmamk_f32 v68, v163, 0x3f737871, v157
	v_add_f32_e32 v66, v66, v73
	v_fmamk_f32 v73, v36, 0xbf737871, v162
	v_fmac_f32_e32 v162, 0x3f737871, v36
	v_sub_f32_e32 v39, v39, v65
	v_add_f32_e32 v65, v175, v65
	v_fmac_f32_e32 v157, 0xbf737871, v163
	v_fmamk_f32 v175, v40, 0x3f737871, v158
	v_fmac_f32_e32 v158, 0xbf737871, v40
	v_fmac_f32_e32 v172, 0x3f167918, v163
	v_fmac_f32_e32 v187, 0xbf167918, v163
	v_fmamk_f32 v163, v41, 0x3f737871, v161
	v_fmac_f32_e32 v161, 0xbf737871, v41
	v_fma_f32 v179, -0.5, v179, v71
	v_fmamk_f32 v71, v74, 0x3f737871, v155
	v_fmac_f32_e32 v155, 0xbf737871, v74
	v_fmac_f32_e32 v76, 0x3f167918, v74
	;; [unrolled: 1-line block ×3, first 2 shown]
	v_fmamk_f32 v74, v177, 0xbf737871, v160
	v_fmac_f32_e32 v160, 0x3f737871, v177
	v_add_f32_e32 v70, v168, v185
	v_fmamk_f32 v168, v38, 0x3f737871, v159
	v_fmac_f32_e32 v159, 0xbf737871, v38
	v_add_f32_e32 v75, v75, v183
	v_fmac_f32_e32 v132, 0xbf167918, v38
	v_fmac_f32_e32 v167, 0x3f167918, v38
	v_fmamk_f32 v183, v34, 0xbf737871, v186
	v_fmac_f32_e32 v186, 0x3f737871, v34
	v_fmac_f32_e32 v68, 0x3f167918, v171
	v_fmamk_f32 v38, v169, 0x3f737871, v156
	v_fmac_f32_e32 v156, 0xbf737871, v169
	v_fmac_f32_e32 v73, 0xbf167918, v40
	;; [unrolled: 1-line block ×3, first 2 shown]
	v_fmamk_f32 v40, v37, 0xbf737871, v133
	v_fmac_f32_e32 v133, 0x3f737871, v37
	v_fmac_f32_e32 v175, 0xbf167918, v36
	;; [unrolled: 1-line block ×5, first 2 shown]
	v_sub_f32_e32 v173, v173, v181
	v_fmamk_f32 v185, v39, 0x3f737871, v72
	v_fmac_f32_e32 v72, 0xbf737871, v39
	v_fmac_f32_e32 v160, 0xbf167918, v169
	v_sub_f32_e32 v165, v165, v32
	v_add_f32_e32 v36, v65, v31
	v_fmac_f32_e32 v183, 0xbf167918, v39
	v_fmac_f32_e32 v186, 0x3f167918, v39
	v_add_f32_e32 v39, v67, v33
	v_fmac_f32_e32 v38, 0x3f167918, v177
	v_fmac_f32_e32 v156, 0xbf167918, v177
	;; [unrolled: 1-line block ×8, first 2 shown]
	v_add_f32_e32 v124, v124, v27
	v_fmac_f32_e32 v71, 0x3f167918, v180
	v_fmac_f32_e32 v155, 0xbf167918, v180
	;; [unrolled: 1-line block ×9, first 2 shown]
	v_fmamk_f32 v181, v173, 0xbf737871, v179
	v_fmac_f32_e32 v179, 0x3f737871, v173
	v_fmac_f32_e32 v185, 0xbf167918, v34
	;; [unrolled: 1-line block ×4, first 2 shown]
	v_fmamk_f32 v180, v165, 0x3f737871, v184
	v_fmac_f32_e32 v184, 0xbf737871, v165
	v_add_f32_e32 v67, v70, v35
	v_add_f32_e32 v27, v42, v66
	v_sub_f32_e32 v31, v42, v66
	v_fmac_f32_e32 v38, 0x3e9e377a, v135
	v_fmac_f32_e32 v156, 0x3e9e377a, v135
	;; [unrolled: 1-line block ×6, first 2 shown]
	v_add_f32_e32 v33, v36, v39
	v_sub_f32_e32 v35, v36, v39
	v_mul_f32_e32 v39, 0x3f167918, v73
	v_mul_f32_e32 v66, 0xbf167918, v68
	v_fmac_f32_e32 v168, 0xbf167918, v28
	v_fmac_f32_e32 v159, 0x3f167918, v28
	v_add_f32_e32 v65, v69, v32
	v_add_f32_e32 v28, v75, v124
	v_sub_f32_e32 v32, v75, v124
	v_fmac_f32_e32 v71, 0x3e9e377a, v125
	v_fmac_f32_e32 v155, 0x3e9e377a, v125
	v_mul_f32_e32 v37, 0xbe9e377a, v161
	v_mul_f32_e32 v69, 0x3f737871, v175
	;; [unrolled: 1-line block ×5, first 2 shown]
	v_fmac_f32_e32 v76, 0x3e9e377a, v127
	v_fmac_f32_e32 v126, 0x3e9e377a, v127
	v_mul_f32_e32 v124, 0xbf4f1bbd, v157
	v_mul_f32_e32 v127, 0xbf4f1bbd, v162
	v_fmac_f32_e32 v179, 0xbf167918, v165
	v_fmac_f32_e32 v185, 0x3e9e377a, v129
	;; [unrolled: 1-line block ×3, first 2 shown]
	v_mul_f32_e32 v129, 0xbe9e377a, v160
	v_fmac_f32_e32 v180, 0x3f167918, v173
	v_fmac_f32_e32 v184, 0xbf167918, v173
	;; [unrolled: 1-line block ×5, first 2 shown]
	v_mul_f32_e32 v128, 0x3f167918, v40
	v_mul_f32_e32 v134, 0x3f737871, v163
	;; [unrolled: 1-line block ×6, first 2 shown]
	v_fmac_f32_e32 v39, 0x3f4f1bbd, v68
	v_fmac_f32_e32 v66, 0x3f4f1bbd, v73
	v_fmac_f32_e32 v168, 0x3e9e377a, v131
	v_fmac_f32_e32 v159, 0x3e9e377a, v131
	v_fmac_f32_e32 v37, 0xbf737871, v160
	v_fmac_f32_e32 v69, 0x3e9e377a, v172
	v_fmac_f32_e32 v75, 0x3f737871, v158
	v_fmac_f32_e32 v70, 0x3e9e377a, v175
	v_fmac_f32_e32 v125, 0xbf737871, v187
	v_fmac_f32_e32 v124, 0x3f167918, v162
	v_fmac_f32_e32 v127, 0xbf167918, v157
	v_fmac_f32_e32 v179, 0x3e9e377a, v178
	v_fmac_f32_e32 v129, 0x3f737871, v161
	v_fmac_f32_e32 v180, 0x3e9e377a, v174
	v_fmac_f32_e32 v184, 0x3e9e377a, v174
	v_fmac_f32_e32 v181, 0x3e9e377a, v178
	v_fmac_f32_e32 v183, 0x3e9e377a, v182
	v_fmac_f32_e32 v186, 0x3e9e377a, v182
	v_fmac_f32_e32 v128, 0x3f4f1bbd, v38
	v_fmac_f32_e32 v134, 0x3e9e377a, v74
	v_fmac_f32_e32 v154, 0x3f167918, v133
	v_fmac_f32_e32 v130, 0x3f4f1bbd, v40
	v_fmac_f32_e32 v135, 0x3e9e377a, v163
	v_fmac_f32_e32 v164, 0xbf167918, v156
	v_add_f32_e32 v41, v71, v39
	v_add_f32_e32 v42, v132, v66
	;; [unrolled: 1-line block ×3, first 2 shown]
	v_sub_f32_e32 v36, v65, v67
	v_add_f32_e32 v38, v72, v37
	v_sub_f32_e32 v40, v72, v37
	v_sub_f32_e32 v65, v71, v39
	v_add_f32_e32 v67, v76, v69
	v_add_f32_e32 v68, v168, v70
	;; [unrolled: 1-line block ×4, first 2 shown]
	v_sub_f32_e32 v69, v76, v69
	v_sub_f32_e32 v73, v126, v75
	v_add_f32_e32 v75, v155, v124
	v_add_f32_e32 v76, v167, v127
	v_sub_f32_e32 v66, v132, v66
	v_sub_f32_e32 v70, v168, v70
	;; [unrolled: 1-line block ×5, first 2 shown]
	v_add_f32_e32 v37, v179, v129
	v_sub_f32_e32 v39, v179, v129
	v_add_f32_e32 v126, v180, v128
	v_add_f32_e32 v127, v183, v130
	v_sub_f32_e32 v128, v180, v128
	v_sub_f32_e32 v129, v183, v130
	v_add_f32_e32 v130, v181, v134
	v_add_f32_e32 v131, v185, v135
	v_sub_f32_e32 v132, v181, v134
	v_sub_f32_e32 v133, v185, v135
	v_add_f32_e32 v134, v184, v154
	v_add_f32_e32 v135, v186, v164
	v_sub_f32_e32 v154, v184, v154
	v_sub_f32_e32 v155, v186, v164
	ds_write2st64_b64 v153, v[27:28], v[41:42] offset1:1
	ds_write2st64_b64 v153, v[67:68], v[71:72] offset0:2 offset1:3
	ds_write2st64_b64 v153, v[75:76], v[31:32] offset0:4 offset1:5
	;; [unrolled: 1-line block ×4, first 2 shown]
	ds_write2st64_b64 v152, v[33:34], v[126:127] offset1:1
	ds_write2st64_b64 v152, v[130:131], v[37:38] offset0:2 offset1:3
	ds_write2st64_b64 v152, v[134:135], v[35:36] offset0:4 offset1:5
	;; [unrolled: 1-line block ×4, first 2 shown]
	v_add_co_u32 v37, vcc_lo, 0x1fe0, v45
	v_add_co_ci_u32_e32 v38, vcc_lo, 0, v46, vcc_lo
	v_add_co_u32 v39, vcc_lo, 0x2be0, v45
	v_add_co_ci_u32_e32 v40, vcc_lo, 0, v46, vcc_lo
	s_waitcnt lgkmcnt(0)
	s_barrier
	buffer_gl0_inv
	s_clause 0x4
	global_load_dwordx4 v[25:28], v[25:26], off offset:992
	global_load_dwordx4 v[33:36], v[29:30], off offset:2016
	;; [unrolled: 1-line block ×3, first 2 shown]
	global_load_dwordx2 v[126:127], v[37:38], off offset:16
	global_load_dwordx2 v[124:125], v[39:40], off offset:16
	v_add_co_u32 v37, vcc_lo, 0x3000, v45
	v_add_co_ci_u32_e32 v38, vcc_lo, 0, v46, vcc_lo
	v_add_co_u32 v41, vcc_lo, 0x4000, v45
	v_add_co_ci_u32_e32 v42, vcc_lo, 0, v46, vcc_lo
	;; [unrolled: 2-line block ×4, first 2 shown]
	v_add_co_u32 v45, vcc_lo, 0x43e0, v45
	s_clause 0x1
	global_load_dwordx4 v[37:40], v[37:38], off offset:2016
	global_load_dwordx4 v[41:44], v[41:42], off offset:992
	v_add_co_ci_u32_e32 v46, vcc_lo, 0, v46, vcc_lo
	s_clause 0x2
	global_load_dwordx2 v[132:133], v[65:66], off offset:16
	global_load_dwordx2 v[130:131], v[67:68], off offset:16
	;; [unrolled: 1-line block ×3, first 2 shown]
	ds_read2st64_b64 v[65:68], v136 offset0:20 offset1:22
	ds_read2st64_b64 v[69:72], v136 offset0:12 offset1:14
	;; [unrolled: 1-line block ×7, first 2 shown]
	ds_read2st64_b64 v[170:173], v136 offset1:2
	ds_read2st64_b64 v[174:177], v136 offset0:4 offset1:6
	ds_read2st64_b64 v[178:181], v136 offset0:8 offset1:10
	s_waitcnt vmcnt(9) lgkmcnt(9)
	v_mul_f32_e32 v45, v66, v28
	v_mul_f32_e32 v46, v65, v28
	s_waitcnt vmcnt(8)
	v_mul_f32_e32 v134, v68, v36
	v_mul_f32_e32 v135, v67, v36
	s_waitcnt lgkmcnt(8)
	v_mul_f32_e32 v182, v70, v34
	v_mul_f32_e32 v183, v69, v34
	s_waitcnt vmcnt(7)
	v_mul_f32_e32 v184, v72, v30
	v_mul_f32_e32 v185, v71, v30
	v_fma_f32 v45, v65, v27, -v45
	v_fmac_f32_e32 v46, v66, v27
	v_fma_f32 v65, v67, v35, -v134
	v_fmac_f32_e32 v135, v68, v35
	s_waitcnt vmcnt(6) lgkmcnt(7)
	v_mul_f32_e32 v66, v73, v127
	s_waitcnt vmcnt(5)
	v_mul_f32_e32 v67, v76, v125
	v_mul_f32_e32 v68, v75, v125
	v_fma_f32 v182, v69, v33, -v182
	s_waitcnt lgkmcnt(6)
	v_mul_f32_e32 v69, v154, v32
	v_mul_f32_e32 v186, v74, v127
	v_mul_f32_e32 v134, v155, v32
	v_fmac_f32_e32 v183, v70, v33
	v_fma_f32 v71, v71, v29, -v184
	v_fmac_f32_e32 v185, v72, v29
	s_waitcnt vmcnt(4)
	v_mul_f32_e32 v70, v157, v40
	v_mul_f32_e32 v72, v156, v40
	s_waitcnt lgkmcnt(5)
	v_mul_f32_e32 v184, v159, v38
	v_fmac_f32_e32 v66, v74, v126
	v_fma_f32 v67, v75, v124, -v67
	v_fmac_f32_e32 v68, v76, v124
	v_mul_f32_e32 v74, v158, v38
	s_waitcnt vmcnt(3)
	v_mul_f32_e32 v75, v161, v42
	v_mul_f32_e32 v76, v160, v42
	v_fmac_f32_e32 v69, v155, v31
	s_waitcnt lgkmcnt(4)
	v_mul_f32_e32 v155, v163, v44
	v_fma_f32 v73, v73, v126, -v186
	s_waitcnt vmcnt(2)
	v_mul_f32_e32 v186, v165, v133
	v_fma_f32 v134, v154, v31, -v134
	v_fma_f32 v70, v156, v39, -v70
	v_fmac_f32_e32 v72, v157, v39
	v_mul_f32_e32 v154, v164, v133
	v_mul_f32_e32 v156, v162, v44
	s_waitcnt vmcnt(1) lgkmcnt(3)
	v_mul_f32_e32 v157, v167, v131
	v_fma_f32 v158, v158, v37, -v184
	v_fmac_f32_e32 v74, v159, v37
	v_fma_f32 v75, v160, v41, -v75
	v_fmac_f32_e32 v76, v161, v41
	v_mul_f32_e32 v159, v166, v131
	s_waitcnt vmcnt(0)
	v_mul_f32_e32 v160, v169, v129
	v_mul_f32_e32 v161, v168, v129
	s_waitcnt lgkmcnt(0)
	v_mul_f32_e32 v184, v181, v26
	v_fma_f32 v155, v162, v43, -v155
	v_mul_f32_e32 v162, v180, v26
	v_fma_f32 v164, v164, v132, -v186
	v_fmac_f32_e32 v154, v165, v132
	v_fmac_f32_e32 v156, v163, v43
	v_fma_f32 v157, v166, v130, -v157
	v_fmac_f32_e32 v159, v167, v130
	v_fma_f32 v160, v168, v128, -v160
	;; [unrolled: 2-line block ×3, first 2 shown]
	v_fmac_f32_e32 v162, v181, v25
	v_sub_f32_e32 v165, v172, v65
	v_sub_f32_e32 v135, v173, v135
	;; [unrolled: 1-line block ×21, first 2 shown]
	v_add_f32_e32 v46, v135, v73
	v_sub_f32_e32 v65, v134, v168
	v_add_f32_e32 v66, v167, v169
	v_sub_f32_e32 v67, v180, v72
	v_add_f32_e32 v68, v181, v157
	v_fma_f32 v172, v172, 2.0, -v165
	v_fma_f32 v173, v173, 2.0, -v135
	v_fma_f32 v170, v170, 2.0, -v161
	v_fma_f32 v171, v171, 2.0, -v184
	v_sub_f32_e32 v69, v155, v159
	v_add_f32_e32 v70, v156, v160
	v_fma_f32 v182, v182, 2.0, -v73
	v_fma_f32 v166, v183, 2.0, -v166
	;; [unrolled: 1-line block ×18, first 2 shown]
	ds_write2st64_b64 v136, v[45:46], v[65:66] offset0:32 offset1:34
	v_fma_f32 v45, v134, 2.0, -v65
	v_fma_f32 v46, v167, 2.0, -v66
	;; [unrolled: 1-line block ×4, first 2 shown]
	ds_write2st64_b64 v136, v[67:68], v[69:70] offset0:36 offset1:38
	v_fma_f32 v67, v155, 2.0, -v69
	v_fma_f32 v68, v156, 2.0, -v70
	v_sub_f32_e32 v69, v170, v163
	v_sub_f32_e32 v70, v171, v162
	;; [unrolled: 1-line block ×9, first 2 shown]
	v_add_f32_e32 v72, v184, v164
	v_sub_f32_e32 v156, v178, v160
	v_sub_f32_e32 v157, v179, v159
	ds_write2st64_b64 v136, v[73:74], v[45:46] offset0:12 offset1:14
	ds_write2st64_b64 v136, v[65:66], v[67:68] offset0:16 offset1:18
	v_fma_f32 v45, v170, 2.0, -v69
	v_fma_f32 v46, v171, 2.0, -v70
	v_fma_f32 v65, v172, 2.0, -v75
	v_fma_f32 v66, v173, 2.0, -v76
	ds_write2st64_b64 v136, v[69:70], v[75:76] offset0:20 offset1:22
	v_fma_f32 v67, v174, 2.0, -v134
	v_fma_f32 v68, v175, 2.0, -v135
	;; [unrolled: 1-line block ×8, first 2 shown]
	ds_write2st64_b64 v136, v[134:135], v[154:155] offset0:24 offset1:26
	ds_write2st64_b64 v136, v[156:157], v[71:72] offset0:28 offset1:30
	ds_write2st64_b64 v136, v[45:46], v[65:66] offset1:2
	ds_write2st64_b64 v136, v[67:68], v[69:70] offset0:4 offset1:6
	ds_write2st64_b64 v136, v[73:74], v[158:159] offset0:8 offset1:10
	s_waitcnt lgkmcnt(0)
	s_barrier
	buffer_gl0_inv
	s_clause 0x13
	global_load_dwordx2 v[65:66], v136, s[6:7]
	global_load_dwordx2 v[69:70], v136, s[6:7] offset:1024
	global_load_dwordx2 v[71:72], v60, s[6:7]
	global_load_dwordx2 v[73:74], v63, s[6:7]
	;; [unrolled: 1-line block ×18, first 2 shown]
	ds_read2st64_b64 v[45:48], v136 offset1:2
	ds_read2st64_b64 v[49:52], v136 offset0:20 offset1:22
	ds_read2st64_b64 v[53:56], v136 offset0:12 offset1:14
	;; [unrolled: 1-line block ×4, first 2 shown]
	s_load_dwordx2 s[6:7], s[4:5], 0x38
	s_mov_b32 s4, 0x9999999a
	s_mov_b32 s5, 0x3f399999
	s_waitcnt vmcnt(19) lgkmcnt(0)
	v_mul_f32_e32 v67, v46, v66
	v_mul_f32_e32 v183, v45, v66
	s_waitcnt vmcnt(18)
	v_mul_f32_e32 v184, v48, v70
	v_mul_f32_e32 v185, v47, v70
	s_waitcnt vmcnt(17)
	v_mul_f32_e32 v70, v49, v72
	v_fma_f32 v182, v45, v65, -v67
	v_fmac_f32_e32 v183, v46, v65
	ds_read2st64_b64 v[65:68], v136 offset0:24 offset1:26
	v_mul_f32_e32 v45, v50, v72
	s_waitcnt vmcnt(16)
	v_mul_f32_e32 v46, v52, v74
	v_mul_f32_e32 v72, v51, v74
	s_waitcnt vmcnt(14)
	v_mul_f32_e32 v186, v54, v135
	v_mul_f32_e32 v74, v53, v135
	v_fma_f32 v184, v47, v69, -v184
	v_fmac_f32_e32 v185, v48, v69
	v_fma_f32 v69, v49, v71, -v45
	v_fmac_f32_e32 v70, v50, v71
	;; [unrolled: 2-line block ×3, first 2 shown]
	ds_read2st64_b64 v[45:48], v136 offset0:8 offset1:10
	s_waitcnt vmcnt(13)
	v_mul_f32_e32 v187, v56, v155
	v_mul_f32_e32 v135, v55, v155
	v_fma_f32 v73, v53, v134, -v186
	v_fmac_f32_e32 v74, v54, v134
	ds_read2st64_b64 v[49:52], v136 offset0:16 offset1:18
	v_mul_f32_e32 v53, v58, v76
	v_mul_f32_e32 v155, v57, v76
	s_waitcnt vmcnt(12)
	v_mul_f32_e32 v54, v60, v157
	v_mul_f32_e32 v76, v59, v157
	v_fma_f32 v134, v55, v154, -v187
	v_fmac_f32_e32 v135, v56, v154
	v_fma_f32 v154, v57, v75, -v53
	v_fmac_f32_e32 v155, v58, v75
	v_fma_f32 v75, v59, v156, -v54
	v_fmac_f32_e32 v76, v60, v156
	ds_read2st64_b64 v[53:56], v136 offset0:28 offset1:30
	ds_read2st64_b64 v[57:60], v136 offset0:36 offset1:38
	s_waitcnt vmcnt(10)
	v_mul_f32_e32 v186, v62, v161
	v_mul_f32_e32 v157, v61, v161
	s_waitcnt vmcnt(9)
	v_mul_f32_e32 v187, v64, v163
	v_mul_f32_e32 v161, v63, v163
	v_fma_f32 v156, v61, v160, -v186
	v_fmac_f32_e32 v157, v62, v160
	v_fma_f32 v160, v63, v162, -v187
	s_waitcnt lgkmcnt(4)
	v_mul_f32_e32 v61, v66, v159
	v_fmac_f32_e32 v161, v64, v162
	v_mul_f32_e32 v62, v65, v159
	s_waitcnt vmcnt(8)
	v_mul_f32_e32 v63, v68, v165
	v_mul_f32_e32 v64, v67, v165
	s_waitcnt vmcnt(7) lgkmcnt(3)
	v_mul_f32_e32 v162, v48, v167
	v_fma_f32 v61, v65, v158, -v61
	v_fmac_f32_e32 v62, v66, v158
	v_mul_f32_e32 v66, v47, v167
	s_waitcnt vmcnt(6)
	v_mul_f32_e32 v158, v46, v169
	v_fma_f32 v63, v67, v164, -v63
	v_fmac_f32_e32 v64, v68, v164
	v_mul_f32_e32 v68, v45, v169
	s_waitcnt vmcnt(4) lgkmcnt(2)
	v_mul_f32_e32 v164, v50, v173
	v_mul_f32_e32 v159, v49, v173
	s_waitcnt vmcnt(3)
	v_mul_f32_e32 v169, v52, v175
	v_fma_f32 v65, v47, v166, -v162
	v_mul_f32_e32 v47, v51, v175
	v_fmac_f32_e32 v66, v48, v166
	s_waitcnt vmcnt(2) lgkmcnt(1)
	v_mul_f32_e32 v48, v56, v177
	v_fma_f32 v67, v45, v168, -v158
	v_fmac_f32_e32 v68, v46, v168
	v_fma_f32 v158, v49, v172, -v164
	s_waitcnt vmcnt(0) lgkmcnt(0)
	v_mul_f32_e32 v168, v60, v181
	v_mul_f32_e32 v49, v59, v181
	v_mul_f32_e32 v163, v55, v177
	v_mul_f32_e32 v45, v54, v179
	v_mul_f32_e32 v165, v53, v179
	v_mul_f32_e32 v166, v58, v171
	v_mul_f32_e32 v167, v57, v171
	v_fma_f32 v46, v51, v174, -v169
	v_fmac_f32_e32 v47, v52, v174
	v_fma_f32 v162, v55, v176, -v48
	v_fma_f32 v48, v59, v180, -v168
	v_fmac_f32_e32 v49, v60, v180
	v_fmac_f32_e32 v159, v50, v172
	;; [unrolled: 1-line block ×3, first 2 shown]
	v_fma_f32 v164, v53, v178, -v45
	v_fmac_f32_e32 v165, v54, v178
	v_fma_f32 v166, v57, v170, -v166
	v_fmac_f32_e32 v167, v58, v170
	ds_write2st64_b64 v136, v[182:183], v[184:185] offset1:2
	ds_write2st64_b64 v136, v[69:70], v[71:72] offset0:20 offset1:22
	ds_write2st64_b64 v136, v[73:74], v[134:135] offset0:12 offset1:14
	;; [unrolled: 1-line block ×9, first 2 shown]
	s_waitcnt lgkmcnt(0)
	s_barrier
	buffer_gl0_inv
	ds_read2st64_b64 v[45:48], v136 offset1:2
	ds_read2st64_b64 v[53:56], v136 offset0:20 offset1:22
	ds_read2st64_b64 v[49:52], v136 offset0:12 offset1:14
	;; [unrolled: 1-line block ×9, first 2 shown]
	s_waitcnt lgkmcnt(0)
	s_barrier
	buffer_gl0_inv
	v_mad_u64_u32 v[134:135], null, s2, v117, 0
	s_mul_i32 s2, s0, 0x1400
	v_sub_f32_e32 v162, v47, v55
	v_sub_f32_e32 v163, v48, v56
	v_sub_f32_e32 v55, v49, v57
	v_sub_f32_e32 v56, v50, v58
	v_sub_f32_e32 v53, v45, v53
	v_sub_f32_e32 v54, v46, v54
	v_sub_f32_e32 v57, v51, v59
	v_sub_f32_e32 v58, v52, v60
	v_sub_f32_e32 v73, v65, v73
	v_sub_f32_e32 v74, v66, v74
	v_sub_f32_e32 v59, v63, v71
	v_sub_f32_e32 v60, v64, v72
	v_sub_f32_e32 v164, v67, v75
	v_sub_f32_e32 v165, v68, v76
	v_sub_f32_e32 v69, v61, v69
	v_sub_f32_e32 v70, v62, v70
	v_sub_f32_e32 v71, v154, v158
	v_sub_f32_e32 v72, v155, v159
	v_sub_f32_e32 v75, v156, v160
	v_sub_f32_e32 v76, v157, v161
	v_fma_f32 v158, v47, 2.0, -v162
	v_fma_f32 v159, v48, 2.0, -v163
	;; [unrolled: 1-line block ×20, first 2 shown]
	v_add_f32_e32 v51, v53, v60
	v_sub_f32_e32 v52, v54, v59
	v_add_f32_e32 v63, v69, v76
	v_sub_f32_e32 v64, v70, v75
	v_sub_f32_e32 v45, v158, v49
	;; [unrolled: 1-line block ×5, first 2 shown]
	v_add_f32_e32 v47, v162, v56
	v_sub_f32_e32 v48, v163, v55
	v_add_f32_e32 v55, v73, v58
	v_sub_f32_e32 v56, v74, v57
	;; [unrolled: 2-line block ×3, first 2 shown]
	v_fma_f32 v71, v53, 2.0, -v51
	v_fma_f32 v72, v54, 2.0, -v52
	v_sub_f32_e32 v53, v168, v160
	v_sub_f32_e32 v54, v169, v161
	;; [unrolled: 1-line block ×6, first 2 shown]
	v_fma_f32 v160, v69, 2.0, -v63
	v_fma_f32 v161, v70, 2.0, -v64
	;; [unrolled: 1-line block ×12, first 2 shown]
	ds_write_b128 v142, v[45:48] offset:16
	v_fma_f32 v73, v168, 2.0, -v53
	v_fma_f32 v74, v169, 2.0, -v54
	;; [unrolled: 1-line block ×6, first 2 shown]
	ds_write_b128 v137, v[49:52] offset:16
	ds_write_b128 v138, v[53:56] offset:16
	;; [unrolled: 1-line block ×4, first 2 shown]
	ds_write_b128 v137, v[69:72]
	ds_write_b128 v137, v[65:68] offset:4096
	ds_write_b128 v137, v[73:76] offset:8192
	ds_write_b128 v137, v[154:157] offset:12288
	ds_write_b128 v137, v[158:161] offset:16384
	s_waitcnt lgkmcnt(0)
	s_barrier
	buffer_gl0_inv
	ds_read2st64_b64 v[47:50], v136 offset0:20 offset1:22
	ds_read2st64_b64 v[51:54], v136 offset0:28 offset1:30
	ds_read2st64_b64 v[55:58], v136 offset0:12 offset1:14
	ds_read2st64_b64 v[59:62], v136 offset0:32 offset1:34
	ds_read2st64_b64 v[63:66], v136 offset0:8 offset1:10
	ds_read2st64_b64 v[67:70], v136 offset0:24 offset1:26
	ds_read2st64_b64 v[71:74], v136 offset0:16 offset1:18
	ds_read2st64_b64 v[137:140], v136 offset0:36 offset1:38
	ds_read2st64_b64 v[154:157], v136 offset1:2
	ds_read2st64_b64 v[158:161], v136 offset0:4 offset1:6
	s_waitcnt lgkmcnt(0)
	s_barrier
	buffer_gl0_inv
	v_mad_u64_u32 v[45:46], null, s0, v0, 0
	s_sub_i32 s0, s12, s0
	s_add_i32 s0, s0, s9
	v_mul_f32_e32 v164, v20, v50
	v_mul_f32_e32 v75, v20, v48
	v_mul_f32_e32 v76, v20, v47
	v_mul_f32_e32 v142, v119, v54
	v_mul_f32_e32 v162, v119, v53
	v_mul_f32_e32 v163, v18, v56
	v_mul_f32_e32 v165, v20, v49
	v_mul_f32_e32 v166, v18, v55
	v_mul_f32_e32 v167, v119, v60
	v_mul_f32_e32 v168, v18, v58
	v_mul_f32_e32 v169, v18, v57
	v_mul_f32_e32 v170, v119, v59
	v_mul_f32_e32 v171, v20, v68
	v_mul_f32_e32 v172, v119, v62
	v_mul_f32_e32 v173, v119, v61
	v_mul_f32_e32 v174, v20, v67
	v_mul_f32_e32 v175, v18, v72
	v_mul_f32_e32 v176, v20, v70
	v_mul_f32_e32 v177, v20, v69
	v_mul_f32_e32 v178, v18, v71
	v_mul_f32_e32 v179, v119, v138
	v_mul_f32_e32 v180, v18, v74
	v_mul_f32_e32 v181, v18, v73
	v_mul_f32_e32 v182, v119, v137
	v_mul_f32_e32 v183, v20, v52
	v_mul_f32_e32 v20, v20, v51
	v_mul_f32_e32 v184, v119, v140
	v_mul_f32_e32 v119, v119, v139
	v_fmac_f32_e32 v164, v19, v49
	v_mul_f32_e32 v49, v18, v66
	v_mul_f32_e32 v18, v18, v65
	v_fmac_f32_e32 v75, v19, v47
	v_fma_f32 v47, v19, v48, -v76
	v_fma_f32 v48, v19, v50, -v165
	v_fmac_f32_e32 v163, v17, v55
	v_fma_f32 v50, v17, v56, -v166
	v_fmac_f32_e32 v168, v17, v57
	;; [unrolled: 2-line block ×13, first 2 shown]
	v_fma_f32 v17, v17, v66, -v18
	v_sub_f32_e32 v62, v154, v75
	v_sub_f32_e32 v65, v155, v47
	;; [unrolled: 1-line block ×20, first 2 shown]
	v_fma_f32 v74, v154, 2.0, -v62
	v_fma_f32 v75, v155, 2.0, -v65
	;; [unrolled: 1-line block ×12, first 2 shown]
	v_add_f32_e32 v17, v62, v19
	v_sub_f32_e32 v18, v65, v18
	v_fma_f32 v63, v163, 2.0, -v47
	v_fma_f32 v64, v50, 2.0, -v48
	v_add_f32_e32 v19, v66, v48
	v_sub_f32_e32 v20, v67, v47
	v_fma_f32 v154, v168, 2.0, -v52
	v_fma_f32 v155, v55, 2.0, -v53
	v_sub_f32_e32 v48, v69, v52
	v_fma_f32 v156, v175, 2.0, -v54
	v_fma_f32 v157, v60, 2.0, -v56
	v_add_f32_e32 v49, v70, v56
	v_fma_f32 v158, v180, 2.0, -v57
	v_fma_f32 v159, v61, 2.0, -v51
	v_add_f32_e32 v47, v68, v53
	v_sub_f32_e32 v50, v71, v54
	v_add_f32_e32 v51, v72, v51
	v_sub_f32_e32 v52, v73, v57
	v_sub_f32_e32 v53, v74, v58
	;; [unrolled: 1-line block ×3, first 2 shown]
	v_fma_f32 v55, v62, 2.0, -v17
	v_fma_f32 v56, v65, 2.0, -v18
	v_sub_f32_e32 v57, v76, v63
	v_sub_f32_e32 v58, v118, v64
	v_fma_f32 v59, v66, 2.0, -v19
	v_fma_f32 v60, v67, 2.0, -v20
	v_sub_f32_e32 v61, v119, v154
	v_sub_f32_e32 v62, v137, v155
	v_fma_f32 v64, v69, 2.0, -v48
	v_sub_f32_e32 v65, v138, v156
	v_sub_f32_e32 v66, v139, v157
	;; [unrolled: 3-line block ×3, first 2 shown]
	v_fma_f32 v63, v68, 2.0, -v47
	v_fma_f32 v68, v71, 2.0, -v50
	;; [unrolled: 1-line block ×14, first 2 shown]
	ds_write2_b64 v141, v[53:54], v[17:18] offset0:8 offset1:12
	ds_write2_b64 v143, v[57:58], v[19:20] offset0:8 offset1:12
	;; [unrolled: 1-line block ×5, first 2 shown]
	ds_write2_b64 v141, v[73:74], v[55:56] offset1:4
	ds_write2_b64 v143, v[75:76], v[59:60] offset1:4
	;; [unrolled: 1-line block ×5, first 2 shown]
	v_mov_b32_e32 v55, v135
	s_waitcnt lgkmcnt(0)
	s_barrier
	buffer_gl0_inv
	ds_read2st64_b64 v[17:20], v136 offset0:8 offset1:10
	ds_read2st64_b64 v[47:50], v136 offset0:20 offset1:22
	;; [unrolled: 1-line block ×3, first 2 shown]
	v_mad_u64_u32 v[75:76], null, s3, v117, v[55:56]
	ds_read2st64_b64 v[55:58], v136 offset0:24 offset1:26
	ds_read2st64_b64 v[59:62], v136 offset1:2
	ds_read2st64_b64 v[63:66], v136 offset0:28 offset1:30
	ds_read2st64_b64 v[67:70], v136 offset0:16 offset1:18
	;; [unrolled: 1-line block ×5, first 2 shown]
	s_waitcnt lgkmcnt(0)
	s_barrier
	buffer_gl0_inv
	v_mad_u64_u32 v[117:118], null, s1, v0, v[46:47]
	v_mul_f32_e32 v0, v22, v20
	v_mul_f32_e32 v46, v24, v48
	;; [unrolled: 1-line block ×30, first 2 shown]
	v_fmac_f32_e32 v46, v23, v47
	v_fma_f32 v47, v23, v48, -v76
	v_fmac_f32_e32 v118, v23, v49
	v_fma_f32 v48, v23, v50, -v119
	;; [unrolled: 2-line block ×8, first 2 shown]
	v_fmac_f32_e32 v166, v122, v71
	v_fmac_f32_e32 v155, v23, v55
	v_fma_f32 v51, v23, v56, -v156
	v_fmac_f32_e32 v157, v23, v57
	v_fma_f32 v52, v23, v58, -v158
	;; [unrolled: 2-line block ×3, first 2 shown]
	v_fma_f32 v22, v122, v72, -v167
	v_fmac_f32_e32 v168, v122, v73
	v_fma_f32 v23, v122, v74, -v169
	v_fmac_f32_e32 v170, v122, v141
	;; [unrolled: 2-line block ×3, first 2 shown]
	v_fma_f32 v55, v122, v144, -v123
	v_sub_f32_e32 v56, v59, v46
	v_sub_f32_e32 v57, v60, v47
	v_sub_f32_e32 v46, v0, v163
	v_sub_f32_e32 v21, v19, v21
	v_sub_f32_e32 v58, v61, v118
	v_sub_f32_e32 v47, v135, v166
	v_sub_f32_e32 v63, v62, v48
	v_sub_f32_e32 v22, v49, v22
	v_sub_f32_e32 v64, v137, v155
	v_sub_f32_e32 v65, v138, v51
	v_sub_f32_e32 v48, v146, v168
	v_sub_f32_e32 v23, v50, v23
	v_sub_f32_e32 v66, v139, v157
	v_sub_f32_e32 v67, v140, v52
	v_sub_f32_e32 v51, v159, v170
	v_sub_f32_e32 v52, v53, v24
	v_sub_f32_e32 v68, v17, v164
	v_sub_f32_e32 v69, v18, v20
	v_sub_f32_e32 v70, v161, v172
	v_sub_f32_e32 v55, v54, v55
	v_fma_f32 v71, v59, 2.0, -v56
	v_fma_f32 v72, v60, 2.0, -v57
	;; [unrolled: 1-line block ×6, first 2 shown]
	v_add_f32_e32 v19, v56, v21
	v_sub_f32_e32 v20, v57, v46
	v_fma_f32 v74, v62, 2.0, -v63
	v_fma_f32 v61, v49, 2.0, -v22
	v_add_f32_e32 v21, v58, v22
	v_fma_f32 v76, v137, 2.0, -v64
	v_fma_f32 v118, v138, 2.0, -v65
	;; [unrolled: 1-line block ×4, first 2 shown]
	v_add_f32_e32 v23, v64, v23
	v_sub_f32_e32 v24, v65, v48
	v_fma_f32 v122, v139, 2.0, -v66
	v_fma_f32 v123, v140, 2.0, -v67
	;; [unrolled: 1-line block ×8, first 2 shown]
	v_sub_f32_e32 v22, v63, v47
	v_add_f32_e32 v46, v66, v52
	v_sub_f32_e32 v47, v67, v51
	v_add_f32_e32 v17, v68, v55
	v_sub_f32_e32 v18, v69, v70
	v_sub_f32_e32 v48, v71, v0
	;; [unrolled: 1-line block ×4, first 2 shown]
	v_fma_f32 v50, v56, 2.0, -v19
	v_fma_f32 v51, v57, 2.0, -v20
	v_sub_f32_e32 v53, v74, v61
	v_fma_f32 v54, v58, 2.0, -v21
	v_sub_f32_e32 v56, v76, v62
	v_sub_f32_e32 v57, v118, v119
	v_fma_f32 v58, v64, 2.0, -v23
	v_fma_f32 v59, v65, 2.0, -v24
	v_sub_f32_e32 v60, v122, v135
	v_sub_f32_e32 v61, v123, v137
	;; [unrolled: 1-line block ×4, first 2 shown]
	v_fma_f32 v55, v63, 2.0, -v22
	v_fma_f32 v62, v66, 2.0, -v46
	;; [unrolled: 1-line block ×15, first 2 shown]
	ds_write2_b64 v147, v[48:49], v[19:20] offset0:32 offset1:48
	ds_write2_b64 v148, v[52:53], v[21:22] offset0:32 offset1:48
	;; [unrolled: 1-line block ×5, first 2 shown]
	ds_write2_b64 v147, v[68:69], v[50:51] offset1:16
	ds_write2_b64 v148, v[70:71], v[54:55] offset1:16
	;; [unrolled: 1-line block ×5, first 2 shown]
	s_waitcnt lgkmcnt(0)
	s_barrier
	buffer_gl0_inv
	ds_read2st64_b64 v[21:24], v136 offset0:4 offset1:6
	ds_read2st64_b64 v[47:50], v136 offset0:8 offset1:10
	;; [unrolled: 1-line block ×8, first 2 shown]
	ds_read2st64_b64 v[137:140], v136 offset1:2
	ds_read2st64_b64 v[141:144], v136 offset0:36 offset1:38
	v_mov_b32_e32 v135, v75
	v_mov_b32_e32 v46, v117
	s_waitcnt lgkmcnt(0)
	s_barrier
	buffer_gl0_inv
	v_lshlrev_b64 v[19:20], 3, v[134:135]
	v_lshlrev_b64 v[17:18], 3, v[45:46]
	s_add_i32 s1, s11, s10
	v_mul_f32_e32 v45, v14, v22
	v_mul_f32_e32 v0, v14, v21
	;; [unrolled: 1-line block ×32, first 2 shown]
	v_fmac_f32_e32 v45, v13, v21
	v_fma_f32 v21, v13, v22, -v0
	v_fmac_f32_e32 v151, v13, v23
	v_fma_f32 v13, v13, v24, -v14
	v_fmac_f32_e32 v46, v15, v47
	v_fma_f32 v0, v15, v48, -v75
	v_fmac_f32_e32 v154, v15, v49
	v_fma_f32 v14, v15, v50, -v16
	v_fmac_f32_e32 v76, v9, v51
	v_fma_f32 v15, v9, v52, -v117
	v_fmac_f32_e32 v118, v11, v55
	v_fma_f32 v16, v5, v60, -v123
	v_fmac_f32_e32 v134, v7, v63
	v_fma_f32 v23, v1, v68, -v146
	v_fmac_f32_e32 v147, v3, v71
	v_mul_f32_e32 v156, v12, v58
	v_mul_f32_e32 v158, v8, v66
	v_fma_f32 v47, v120, v142, -v150
	v_mul_f32_e32 v12, v12, v57
	v_mul_f32_e32 v8, v8, v65
	v_fmac_f32_e32 v155, v9, v53
	v_fma_f32 v9, v9, v54, -v10
	v_fma_f32 v10, v11, v56, -v119
	v_fmac_f32_e32 v122, v5, v59
	v_fma_f32 v22, v7, v64, -v135
	v_fmac_f32_e32 v145, v1, v67
	;; [unrolled: 2-line block ×3, first 2 shown]
	v_fmac_f32_e32 v157, v5, v61
	v_fma_f32 v5, v5, v62, -v6
	v_fmac_f32_e32 v159, v1, v69
	v_fma_f32 v1, v1, v70, -v2
	;; [unrolled: 2-line block ×3, first 2 shown]
	v_fma_f32 v3, v120, v144, -v121
	v_sub_f32_e32 v48, v46, v118
	v_sub_f32_e32 v49, v147, v134
	;; [unrolled: 1-line block ×4, first 2 shown]
	v_add_f32_e32 v60, v45, v76
	v_add_f32_e32 v69, v21, v15
	;; [unrolled: 1-line block ×3, first 2 shown]
	v_fmac_f32_e32 v156, v11, v57
	v_fmac_f32_e32 v158, v7, v65
	v_add_f32_e32 v75, v15, v47
	v_fma_f32 v11, v11, v58, -v12
	v_fma_f32 v6, v7, v66, -v8
	v_fmac_f32_e32 v161, v120, v143
	v_add_f32_e32 v7, v118, v134
	v_sub_f32_e32 v8, v0, v24
	v_add_f32_e32 v53, v138, v0
	v_sub_f32_e32 v56, v0, v10
	v_sub_f32_e32 v57, v24, v22
	v_add_f32_e32 v58, v0, v24
	v_sub_f32_e32 v0, v10, v0
	;; [unrolled: 3-line block ×3, first 2 shown]
	v_sub_f32_e32 v63, v16, v23
	v_sub_f32_e32 v67, v122, v76
	;; [unrolled: 1-line block ×7, first 2 shown]
	v_add_f32_e32 v117, v139, v154
	v_add_f32_e32 v144, v140, v14
	;; [unrolled: 1-line block ×10, first 2 shown]
	v_fma_f32 v60, -0.5, v70, v21
	v_add_f32_e32 v4, v137, v46
	v_add_f32_e32 v50, v46, v147
	;; [unrolled: 1-line block ×3, first 2 shown]
	v_sub_f32_e32 v64, v76, v122
	v_sub_f32_e32 v65, v149, v145
	v_add_f32_e32 v66, v76, v149
	v_sub_f32_e32 v72, v122, v145
	v_sub_f32_e32 v123, v154, v156
	;; [unrolled: 1-line block ×3, first 2 shown]
	v_fmac_f32_e32 v21, -0.5, v75
	v_sub_f32_e32 v12, v10, v22
	v_sub_f32_e32 v76, v23, v47
	v_add_f32_e32 v119, v156, v158
	v_sub_f32_e32 v120, v14, v2
	v_sub_f32_e32 v121, v11, v6
	v_add_f32_e32 v141, v154, v160
	;; [unrolled: 3-line block ×4, first 2 shown]
	v_sub_f32_e32 v14, v11, v14
	v_add_f32_e32 v166, v157, v159
	v_sub_f32_e32 v167, v9, v3
	v_sub_f32_e32 v168, v5, v1
	;; [unrolled: 1-line block ×3, first 2 shown]
	v_add_f32_e32 v171, v155, v161
	v_sub_f32_e32 v172, v157, v155
	v_sub_f32_e32 v155, v155, v161
	;; [unrolled: 1-line block ×5, first 2 shown]
	v_add_f32_e32 v10, v53, v10
	v_add_f32_e32 v51, v56, v57
	;; [unrolled: 1-line block ×3, first 2 shown]
	v_fma_f32 v56, -0.5, v61, v45
	v_add_f32_e32 v57, v67, v68
	v_add_f32_e32 v59, v73, v74
	;; [unrolled: 1-line block ×5, first 2 shown]
	v_fma_f32 v74, -0.5, v7, v137
	v_add_f32_e32 v5, v174, v5
	v_fma_f32 v117, -0.5, v175, v13
	v_fmac_f32_e32 v13, -0.5, v179
	v_add_f32_e32 v16, v16, v23
	v_fmamk_f32 v23, v71, 0x3f737871, v60
	v_sub_f32_e32 v46, v46, v147
	v_add_f32_e32 v4, v4, v118
	v_add_f32_e32 v53, v64, v65
	v_fmac_f32_e32 v45, -0.5, v66
	v_add_f32_e32 v64, v123, v135
	v_fma_f32 v50, -0.5, v50, v137
	v_fma_f32 v54, -0.5, v54, v138
	v_fmamk_f32 v135, v72, 0xbf737871, v21
	v_fmac_f32_e32 v21, 0x3f737871, v72
	v_fmac_f32_e32 v60, 0xbf737871, v71
	v_sub_f32_e32 v55, v118, v134
	v_sub_f32_e32 v162, v2, v6
	;; [unrolled: 1-line block ×5, first 2 shown]
	v_add_f32_e32 v15, v15, v76
	v_add_f32_e32 v65, v142, v143
	v_fma_f32 v67, -0.5, v146, v140
	v_fma_f32 v70, -0.5, v166, v151
	v_fmac_f32_e32 v151, -0.5, v171
	v_fma_f32 v75, -0.5, v119, v139
	v_fma_f32 v76, -0.5, v141, v139
	v_fmamk_f32 v118, v8, 0xbf737871, v74
	v_fmac_f32_e32 v74, 0x3f737871, v8
	v_add_f32_e32 v10, v10, v22
	v_fmamk_f32 v123, v62, 0xbf737871, v56
	v_add_f32_e32 v6, v11, v6
	v_add_f32_e32 v11, v68, v159
	;; [unrolled: 1-line block ×3, first 2 shown]
	v_fmamk_f32 v143, v155, 0x3f737871, v117
	v_fmac_f32_e32 v117, 0xbf737871, v155
	v_fmamk_f32 v144, v176, 0xbf737871, v13
	v_fmac_f32_e32 v13, 0x3f737871, v176
	v_fmac_f32_e32 v23, 0x3f167918, v72
	v_fma_f32 v58, -0.5, v58, v138
	v_add_f32_e32 v4, v4, v134
	v_fmamk_f32 v119, v12, 0x3f737871, v50
	v_fmac_f32_e32 v50, 0xbf737871, v12
	v_fmamk_f32 v22, v46, 0x3f737871, v54
	v_fmac_f32_e32 v54, 0xbf737871, v46
	;; [unrolled: 2-line block ×3, first 2 shown]
	v_fmac_f32_e32 v135, 0x3f167918, v71
	v_fmac_f32_e32 v21, 0xbf167918, v71
	;; [unrolled: 1-line block ×4, first 2 shown]
	v_sub_f32_e32 v150, v156, v158
	v_sub_f32_e32 v170, v161, v159
	;; [unrolled: 1-line block ×3, first 2 shown]
	v_fmac_f32_e32 v140, -0.5, v163
	v_add_f32_e32 v7, v177, v178
	v_add_f32_e32 v9, v9, v180
	v_fmamk_f32 v137, v120, 0xbf737871, v75
	v_fmac_f32_e32 v75, 0x3f737871, v120
	v_fmamk_f32 v138, v121, 0x3f737871, v76
	v_fmac_f32_e32 v76, 0xbf737871, v121
	;; [unrolled: 2-line block ×5, first 2 shown]
	v_fmac_f32_e32 v118, 0xbf167918, v12
	v_fmac_f32_e32 v74, 0x3f167918, v12
	v_add_f32_e32 v5, v10, v24
	v_fmac_f32_e32 v123, 0xbf167918, v63
	v_add_f32_e32 v10, v16, v47
	v_add_f32_e32 v16, v6, v2
	;; [unrolled: 1-line block ×4, first 2 shown]
	v_fmac_f32_e32 v143, 0x3f167918, v176
	v_fmac_f32_e32 v117, 0xbf167918, v176
	;; [unrolled: 1-line block ×5, first 2 shown]
	v_fmamk_f32 v122, v55, 0xbf737871, v58
	v_fmac_f32_e32 v58, 0x3f737871, v55
	v_fmac_f32_e32 v119, 0xbf167918, v8
	;; [unrolled: 1-line block ×9, first 2 shown]
	v_add_f32_e32 v52, v52, v145
	v_fmac_f32_e32 v56, 0x3f167918, v63
	v_fmac_f32_e32 v60, 0x3e9e377a, v59
	v_add_f32_e32 v66, v154, v162
	v_add_f32_e32 v69, v169, v170
	v_add_f32_e32 v73, v172, v173
	v_fmamk_f32 v139, v150, 0xbf737871, v140
	v_fmac_f32_e32 v140, 0x3f737871, v150
	v_fmac_f32_e32 v137, 0xbf167918, v121
	;; [unrolled: 1-line block ×14, first 2 shown]
	v_add_f32_e32 v1, v5, v10
	v_sub_f32_e32 v3, v5, v10
	v_fmac_f32_e32 v143, 0x3e9e377a, v7
	v_fmac_f32_e32 v117, 0x3e9e377a, v7
	;; [unrolled: 1-line block ×4, first 2 shown]
	v_add_f32_e32 v5, v16, v11
	v_sub_f32_e32 v7, v16, v11
	v_mul_f32_e32 v16, 0xbf167918, v23
	v_mul_f32_e32 v48, 0x3f4f1bbd, v23
	v_add_f32_e32 v61, v61, v158
	v_fmac_f32_e32 v122, 0x3f167918, v46
	v_fmac_f32_e32 v58, 0xbf167918, v46
	;; [unrolled: 1-line block ×8, first 2 shown]
	v_mul_f32_e32 v24, 0xbf737871, v135
	v_mul_f32_e32 v46, 0xbf737871, v21
	;; [unrolled: 1-line block ×4, first 2 shown]
	v_add_f32_e32 v8, v52, v149
	v_fmac_f32_e32 v56, 0x3e9e377a, v53
	v_mul_f32_e32 v47, 0xbf167918, v60
	v_mul_f32_e32 v52, 0xbf4f1bbd, v60
	v_add_f32_e32 v14, v14, v164
	v_add_f32_e32 v4, v4, v147
	v_fmac_f32_e32 v139, 0x3f167918, v148
	v_fmac_f32_e32 v140, 0xbf167918, v148
	v_fmac_f32_e32 v137, 0x3e9e377a, v64
	v_fmac_f32_e32 v75, 0x3e9e377a, v64
	v_fmac_f32_e32 v138, 0x3e9e377a, v65
	v_fmac_f32_e32 v76, 0x3e9e377a, v65
	v_fmac_f32_e32 v68, 0x3e9e377a, v66
	v_fmac_f32_e32 v67, 0x3e9e377a, v66
	v_fmac_f32_e32 v141, 0x3e9e377a, v69
	v_fmac_f32_e32 v70, 0x3e9e377a, v69
	v_fmac_f32_e32 v142, 0x3e9e377a, v73
	v_fmac_f32_e32 v151, 0x3e9e377a, v73
	v_mul_f32_e32 v57, 0xbf167918, v143
	v_mul_f32_e32 v59, 0xbf737871, v144
	;; [unrolled: 1-line block ×8, first 2 shown]
	v_fmac_f32_e32 v16, 0x3f4f1bbd, v123
	v_fmac_f32_e32 v48, 0x3f167918, v123
	v_add_f32_e32 v12, v61, v160
	v_fmac_f32_e32 v122, 0x3e9e377a, v0
	v_fmac_f32_e32 v58, 0x3e9e377a, v0
	;; [unrolled: 1-line block ×8, first 2 shown]
	v_add_f32_e32 v0, v4, v8
	v_sub_f32_e32 v2, v4, v8
	v_fmac_f32_e32 v139, 0x3e9e377a, v14
	v_fmac_f32_e32 v140, 0x3e9e377a, v14
	;; [unrolled: 1-line block ×10, first 2 shown]
	v_add_f32_e32 v8, v118, v16
	v_add_f32_e32 v9, v22, v48
	v_add_f32_e32 v4, v12, v6
	v_sub_f32_e32 v6, v12, v6
	v_add_f32_e32 v10, v119, v24
	v_add_f32_e32 v12, v50, v46
	;; [unrolled: 1-line block ×6, first 2 shown]
	v_sub_f32_e32 v21, v118, v16
	v_sub_f32_e32 v23, v119, v24
	;; [unrolled: 1-line block ×8, first 2 shown]
	v_add_f32_e32 v49, v137, v57
	v_add_f32_e32 v51, v138, v59
	;; [unrolled: 1-line block ×8, first 2 shown]
	v_sub_f32_e32 v57, v137, v57
	v_sub_f32_e32 v59, v138, v59
	;; [unrolled: 1-line block ×8, first 2 shown]
	ds_write2st64_b64 v153, v[0:1], v[8:9] offset1:1
	ds_write2st64_b64 v153, v[10:11], v[12:13] offset0:2 offset1:3
	ds_write2st64_b64 v153, v[14:15], v[2:3] offset0:4 offset1:5
	;; [unrolled: 1-line block ×4, first 2 shown]
	ds_write2st64_b64 v152, v[4:5], v[49:50] offset1:1
	ds_write2st64_b64 v152, v[51:52], v[53:54] offset0:2 offset1:3
	ds_write2st64_b64 v152, v[55:56], v[6:7] offset0:4 offset1:5
	;; [unrolled: 1-line block ×4, first 2 shown]
	v_add_co_u32 v8, vcc_lo, s6, v19
	s_waitcnt lgkmcnt(0)
	s_barrier
	buffer_gl0_inv
	ds_read2st64_b64 v[0:3], v136 offset0:8 offset1:10
	ds_read2st64_b64 v[4:7], v136 offset0:20 offset1:22
	v_add_co_ci_u32_e32 v9, vcc_lo, s7, v20, vcc_lo
	ds_read2st64_b64 v[12:15], v136 offset0:28 offset1:30
	ds_read2st64_b64 v[19:22], v136 offset0:12 offset1:14
	;; [unrolled: 1-line block ×4, first 2 shown]
	ds_read2st64_b64 v[53:56], v136 offset1:2
	ds_read2st64_b64 v[57:60], v136 offset0:4 offset1:6
	ds_read2st64_b64 v[61:64], v136 offset0:16 offset1:18
	ds_read2st64_b64 v[65:68], v136 offset0:36 offset1:38
	v_add_co_u32 v8, vcc_lo, v8, v17
	v_add_co_ci_u32_e32 v9, vcc_lo, v9, v18, vcc_lo
	v_add_co_u32 v10, vcc_lo, v8, s2
	v_add_co_ci_u32_e32 v11, vcc_lo, s1, v9, vcc_lo
	s_waitcnt lgkmcnt(9)
	v_mul_f32_e32 v16, v26, v3
	v_mul_f32_e32 v17, v26, v2
	s_waitcnt lgkmcnt(8)
	v_mul_f32_e32 v18, v28, v5
	v_mul_f32_e32 v23, v28, v4
	;; [unrolled: 3-line block ×4, first 2 shown]
	v_mul_f32_e32 v69, v36, v7
	v_mul_f32_e32 v36, v36, v6
	s_waitcnt lgkmcnt(5)
	v_mul_f32_e32 v70, v127, v46
	v_mul_f32_e32 v71, v127, v45
	v_mul_f32_e32 v72, v30, v22
	v_mul_f32_e32 v30, v30, v21
	s_waitcnt lgkmcnt(4)
	v_mul_f32_e32 v73, v32, v50
	v_mul_f32_e32 v32, v32, v49
	;; [unrolled: 5-line block ×4, first 2 shown]
	v_mul_f32_e32 v120, v42, v64
	v_mul_f32_e32 v42, v42, v63
	;; [unrolled: 1-line block ×6, first 2 shown]
	v_fmac_f32_e32 v16, v25, v2
	v_fma_f32 v2, v25, v3, -v17
	v_fmac_f32_e32 v18, v27, v4
	v_fma_f32 v3, v27, v5, -v23
	;; [unrolled: 2-line block ×15, first 2 shown]
	v_sub_f32_e32 v18, v53, v18
	v_sub_f32_e32 v23, v54, v3
	;; [unrolled: 1-line block ×20, first 2 shown]
	v_fma_f32 v35, v53, 2.0, -v18
	v_fma_f32 v36, v54, 2.0, -v23
	;; [unrolled: 1-line block ×4, first 2 shown]
	v_add_f32_e32 v2, v18, v4
	v_sub_f32_e32 v3, v23, v3
	v_fma_f32 v38, v55, 2.0, -v24
	v_fma_f32 v39, v56, 2.0, -v25
	;; [unrolled: 1-line block ×8, first 2 shown]
	v_add_f32_e32 v4, v24, v7
	v_sub_f32_e32 v5, v25, v6
	v_add_f32_e32 v6, v26, v17
	v_sub_f32_e32 v7, v27, v15
	v_fma_f32 v45, v59, 2.0, -v29
	v_fma_f32 v46, v60, 2.0, -v30
	;; [unrolled: 1-line block ×4, first 2 shown]
	v_add_f32_e32 v12, v29, v21
	v_sub_f32_e32 v13, v30, v20
	v_fma_f32 v49, v0, 2.0, -v32
	v_fma_f32 v50, v1, 2.0, -v33
	;; [unrolled: 1-line block ×4, first 2 shown]
	v_add_f32_e32 v0, v32, v34
	v_sub_f32_e32 v1, v33, v31
	v_sub_f32_e32 v14, v35, v16
	;; [unrolled: 1-line block ×3, first 2 shown]
	v_fma_f32 v16, v18, 2.0, -v2
	v_fma_f32 v17, v23, 2.0, -v3
	v_sub_f32_e32 v18, v38, v28
	v_sub_f32_e32 v19, v39, v40
	;; [unrolled: 1-line block ×4, first 2 shown]
	v_fma_f32 v20, v24, 2.0, -v4
	v_fma_f32 v21, v25, 2.0, -v5
	;; [unrolled: 1-line block ×4, first 2 shown]
	v_sub_f32_e32 v26, v45, v47
	v_sub_f32_e32 v27, v46, v48
	v_fma_f32 v28, v29, 2.0, -v12
	v_fma_f32 v29, v30, 2.0, -v13
	v_sub_f32_e32 v30, v49, v51
	v_sub_f32_e32 v31, v50, v52
	v_fma_f32 v32, v32, 2.0, -v0
	v_fma_f32 v33, v33, 2.0, -v1
	ds_write2st64_b64 v136, v[4:5], v[6:7] offset0:32 offset1:34
	ds_write2st64_b64 v136, v[12:13], v[0:1] offset0:36 offset1:38
	v_fma_f32 v0, v35, 2.0, -v14
	v_fma_f32 v1, v36, 2.0, -v15
	;; [unrolled: 1-line block ×10, first 2 shown]
	ds_write2st64_b64 v136, v[14:15], v[18:19] offset0:20 offset1:22
	ds_write2st64_b64 v136, v[20:21], v[24:25] offset0:12 offset1:14
	;; [unrolled: 1-line block ×5, first 2 shown]
	ds_write2st64_b64 v136, v[0:1], v[4:5] offset1:2
	ds_write2st64_b64 v136, v[6:7], v[12:13] offset0:4 offset1:6
	ds_write2st64_b64 v136, v[34:35], v[16:17] offset0:8 offset1:10
	s_waitcnt lgkmcnt(0)
	s_barrier
	buffer_gl0_inv
	ds_read2st64_b64 v[14:17], v136 offset1:2
	ds_read2st64_b64 v[4:7], v136 offset0:8 offset1:10
	ds_read2st64_b64 v[18:21], v136 offset0:20 offset1:22
	;; [unrolled: 1-line block ×7, first 2 shown]
	v_add_co_u32 v12, vcc_lo, v10, s2
	v_add_co_ci_u32_e32 v13, vcc_lo, s1, v11, vcc_lo
	v_add_co_u32 v38, vcc_lo, v12, s2
	v_add_co_ci_u32_e32 v39, vcc_lo, s1, v13, vcc_lo
	;; [unrolled: 2-line block ×3, first 2 shown]
	s_waitcnt lgkmcnt(7)
	v_mul_f32_e32 v42, v116, v15
	v_mul_f32_e32 v43, v116, v14
	s_waitcnt lgkmcnt(6)
	v_mul_f32_e32 v44, v114, v7
	v_mul_f32_e32 v45, v114, v6
	;; [unrolled: 3-line block ×4, first 2 shown]
	v_fmac_f32_e32 v42, v115, v14
	v_fma_f32 v14, v115, v15, -v43
	v_mul_f32_e32 v50, v110, v17
	v_mul_f32_e32 v51, v110, v16
	v_fmac_f32_e32 v44, v113, v6
	v_fma_f32 v43, v113, v7, -v45
	s_waitcnt lgkmcnt(3)
	v_mul_f32_e32 v52, v106, v23
	v_mul_f32_e32 v53, v106, v22
	v_fmac_f32_e32 v46, v111, v18
	v_fma_f32 v45, v111, v19, -v47
	v_fmac_f32_e32 v48, v107, v2
	v_fma_f32 v47, v107, v3, -v49
	v_cvt_f64_f32_e32 v[2:3], v42
	v_cvt_f64_f32_e32 v[6:7], v14
	v_fmac_f32_e32 v50, v109, v16
	v_fma_f32 v49, v109, v17, -v51
	v_cvt_f64_f32_e32 v[14:15], v44
	v_cvt_f64_f32_e32 v[16:17], v43
	;; [unrolled: 4-line block ×3, first 2 shown]
	v_mul_f32_e32 v54, v104, v21
	v_mul_f32_e32 v55, v104, v20
	s_waitcnt lgkmcnt(2)
	v_mul_f32_e32 v56, v100, v27
	v_mul_f32_e32 v57, v100, v26
	s_waitcnt lgkmcnt(1)
	v_mul_f32_e32 v58, v102, v31
	v_mul_f32_e32 v59, v102, v30
	v_fmac_f32_e32 v54, v103, v20
	v_fma_f32 v53, v103, v21, -v55
	v_fmac_f32_e32 v56, v99, v26
	v_fma_f32 v55, v99, v27, -v57
	v_cvt_f64_f32_e32 v[20:21], v48
	v_cvt_f64_f32_e32 v[26:27], v47
	v_mul_f64 v[2:3], v[2:3], s[4:5]
	v_mul_f64 v[6:7], v[6:7], s[4:5]
	v_fmac_f32_e32 v58, v101, v30
	v_fma_f32 v57, v101, v31, -v59
	v_mul_f64 v[14:15], v[14:15], s[4:5]
	v_mul_f64 v[16:17], v[16:17], s[4:5]
	v_cvt_f64_f32_e32 v[30:31], v50
	v_cvt_f64_f32_e32 v[42:43], v49
	v_mul_f64 v[18:19], v[18:19], s[4:5]
	v_mul_f64 v[22:23], v[22:23], s[4:5]
	v_cvt_f64_f32_e32 v[44:45], v52
	v_cvt_f64_f32_e32 v[46:47], v51
	;; [unrolled: 1-line block ×6, first 2 shown]
	v_mul_f32_e32 v60, v98, v25
	v_mul_f32_e32 v61, v98, v24
	v_cvt_f64_f32_e32 v[56:57], v57
	s_waitcnt lgkmcnt(0)
	v_mul_f32_e32 v62, v96, v35
	v_mul_f64 v[20:21], v[20:21], s[4:5]
	v_fmac_f32_e32 v60, v97, v24
	v_fma_f32 v61, v97, v25, -v61
	v_cvt_f32_f64_e32 v2, v[2:3]
	v_cvt_f32_f64_e32 v3, v[6:7]
	v_cvt_f64_f32_e32 v[24:25], v58
	v_cvt_f32_f64_e32 v6, v[14:15]
	v_cvt_f32_f64_e32 v7, v[16:17]
	v_cvt_f64_f32_e32 v[58:59], v60
	v_mul_f64 v[26:27], v[26:27], s[4:5]
	v_cvt_f32_f64_e32 v14, v[18:19]
	v_cvt_f32_f64_e32 v15, v[22:23]
	v_cvt_f64_f32_e32 v[16:17], v61
	v_mul_f64 v[30:31], v[30:31], s[4:5]
	v_mul_f64 v[42:43], v[42:43], s[4:5]
	;; [unrolled: 1-line block ×8, first 2 shown]
	v_mul_f32_e32 v63, v96, v34
	v_fmac_f32_e32 v62, v95, v34
	global_store_dwordx2 v[8:9], v[2:3], off
	global_store_dwordx2 v[10:11], v[6:7], off
	;; [unrolled: 1-line block ×3, first 2 shown]
	v_fma_f32 v60, v95, v35, -v63
	v_mul_f32_e32 v6, v94, v29
	v_mul_f64 v[22:23], v[24:25], s[4:5]
	v_mul_f64 v[24:25], v[56:57], s[4:5]
	v_cvt_f32_f64_e32 v20, v[20:21]
	v_cvt_f32_f64_e32 v21, v[26:27]
	v_mul_f64 v[2:3], v[58:59], s[4:5]
	v_mul_f64 v[10:11], v[16:17], s[4:5]
	v_cvt_f64_f32_e32 v[12:13], v62
	v_cvt_f64_f32_e32 v[14:15], v60
	v_cvt_f32_f64_e32 v26, v[30:31]
	v_cvt_f32_f64_e32 v27, v[42:43]
	;; [unrolled: 1-line block ×4, first 2 shown]
	v_fmac_f32_e32 v6, v93, v28
	v_mul_f32_e32 v7, v94, v28
	v_cvt_f32_f64_e32 v34, v[48:49]
	v_cvt_f32_f64_e32 v35, v[50:51]
	;; [unrolled: 1-line block ×4, first 2 shown]
	v_cvt_f64_f32_e32 v[44:45], v6
	v_fma_f32 v6, v93, v29, -v7
	v_add_co_u32 v18, vcc_lo, v40, s2
	v_add_co_ci_u32_e32 v19, vcc_lo, s1, v41, vcc_lo
	v_cvt_f64_f32_e32 v[46:47], v6
	ds_read2st64_b64 v[6:9], v136 offset0:16 offset1:18
	v_add_co_u32 v16, vcc_lo, v18, s2
	v_add_co_ci_u32_e32 v17, vcc_lo, s1, v19, vcc_lo
	v_cvt_f32_f64_e32 v2, v[2:3]
	v_add_co_u32 v28, vcc_lo, v16, s2
	v_add_co_ci_u32_e32 v29, vcc_lo, s1, v17, vcc_lo
	global_store_dwordx2 v[38:39], v[20:21], off
	global_store_dwordx2 v[40:41], v[26:27], off
	;; [unrolled: 1-line block ×5, first 2 shown]
	v_cvt_f32_f64_e32 v16, v[22:23]
	v_cvt_f32_f64_e32 v17, v[24:25]
	v_cvt_f32_f64_e32 v3, v[10:11]
	v_mul_f64 v[10:11], v[12:13], s[4:5]
	v_mul_f64 v[12:13], v[14:15], s[4:5]
	v_add_co_u32 v14, vcc_lo, v28, s8
	v_add_co_ci_u32_e32 v15, vcc_lo, s0, v29, vcc_lo
	s_waitcnt lgkmcnt(0)
	v_mul_f32_e32 v25, v92, v7
	v_mul_f32_e32 v26, v92, v6
	;; [unrolled: 1-line block ×4, first 2 shown]
	v_mul_f64 v[18:19], v[44:45], s[4:5]
	v_fmac_f32_e32 v25, v91, v6
	v_add_co_u32 v6, vcc_lo, v14, s2
	v_fma_f32 v26, v91, v7, -v26
	v_add_co_ci_u32_e32 v7, vcc_lo, s1, v15, vcc_lo
	v_fma_f32 v24, v89, v33, -v24
	v_mul_f64 v[20:21], v[46:47], s[4:5]
	v_fmac_f32_e32 v22, v89, v32
	global_store_dwordx2 v[14:15], v[16:17], off
	global_store_dwordx2 v[6:7], v[2:3], off
	v_cvt_f32_f64_e32 v2, v[10:11]
	v_cvt_f32_f64_e32 v3, v[12:13]
	ds_read2st64_b64 v[10:13], v136 offset0:36 offset1:38
	v_cvt_f64_f32_e32 v[14:15], v24
	v_cvt_f64_f32_e32 v[22:23], v22
	;; [unrolled: 1-line block ×4, first 2 shown]
	v_mul_f32_e32 v26, v88, v37
	v_mul_f32_e32 v27, v88, v36
	;; [unrolled: 1-line block ×5, first 2 shown]
	v_fmac_f32_e32 v26, v87, v36
	v_fma_f32 v28, v87, v37, -v27
	v_fmac_f32_e32 v34, v77, v8
	v_mul_f32_e32 v8, v78, v8
	v_mul_f32_e32 v36, v84, v1
	;; [unrolled: 1-line block ×3, first 2 shown]
	v_cvt_f64_f32_e32 v[26:27], v26
	v_cvt_f64_f32_e32 v[28:29], v28
	v_cvt_f32_f64_e32 v18, v[18:19]
	v_cvt_f32_f64_e32 v19, v[20:21]
	s_waitcnt lgkmcnt(0)
	v_mul_f32_e32 v30, v82, v11
	v_mul_f32_e32 v31, v82, v10
	;; [unrolled: 1-line block ×3, first 2 shown]
	v_mul_f64 v[14:15], v[14:15], s[4:5]
	v_mul_f32_e32 v39, v86, v12
	v_fmac_f32_e32 v30, v81, v10
	v_fma_f32 v10, v81, v11, -v31
	v_fmac_f32_e32 v32, v79, v4
	v_fma_f32 v33, v79, v5, -v33
	v_fma_f32 v8, v77, v9, -v8
	v_fmac_f32_e32 v36, v83, v0
	v_fma_f32 v37, v83, v1, -v37
	v_cvt_f64_f32_e32 v[4:5], v30
	v_cvt_f64_f32_e32 v[10:11], v10
	v_fmac_f32_e32 v38, v85, v12
	v_fma_f32 v39, v85, v13, -v39
	v_mul_f64 v[22:23], v[22:23], s[4:5]
	v_cvt_f64_f32_e32 v[30:31], v32
	v_cvt_f64_f32_e32 v[32:33], v33
	v_mul_f64 v[16:17], v[16:17], s[4:5]
	v_mul_f64 v[24:25], v[24:25], s[4:5]
	v_cvt_f64_f32_e32 v[34:35], v34
	v_cvt_f64_f32_e32 v[0:1], v8
	v_cvt_f64_f32_e32 v[8:9], v36
	v_cvt_f64_f32_e32 v[12:13], v37
	v_cvt_f64_f32_e32 v[36:37], v38
	v_cvt_f64_f32_e32 v[38:39], v39
	v_add_co_u32 v6, vcc_lo, v6, s2
	v_add_co_ci_u32_e32 v7, vcc_lo, s1, v7, vcc_lo
	v_add_co_u32 v20, vcc_lo, v6, s2
	v_add_co_ci_u32_e32 v21, vcc_lo, s1, v7, vcc_lo
	global_store_dwordx2 v[6:7], v[2:3], off
	global_store_dwordx2 v[20:21], v[18:19], off
	v_cvt_f32_f64_e32 v3, v[14:15]
	v_mul_f64 v[6:7], v[26:27], s[4:5]
	v_mul_f64 v[14:15], v[28:29], s[4:5]
	v_add_co_u32 v18, vcc_lo, v20, s8
	v_mul_f64 v[4:5], v[4:5], s[4:5]
	v_mul_f64 v[10:11], v[10:11], s[4:5]
	v_cvt_f32_f64_e32 v2, v[22:23]
	v_add_co_ci_u32_e32 v19, vcc_lo, s0, v21, vcc_lo
	v_mul_f64 v[20:21], v[30:31], s[4:5]
	v_mul_f64 v[22:23], v[32:33], s[4:5]
	v_cvt_f32_f64_e32 v16, v[16:17]
	v_cvt_f32_f64_e32 v17, v[24:25]
	v_mul_f64 v[24:25], v[34:35], s[4:5]
	v_mul_f64 v[0:1], v[0:1], s[4:5]
	;; [unrolled: 1-line block ×6, first 2 shown]
	v_add_co_u32 v30, vcc_lo, v18, s2
	v_add_co_ci_u32_e32 v31, vcc_lo, s1, v19, vcc_lo
	v_cvt_f32_f64_e32 v6, v[6:7]
	v_cvt_f32_f64_e32 v7, v[14:15]
	v_add_co_u32 v14, vcc_lo, v30, s2
	v_add_co_ci_u32_e32 v15, vcc_lo, s1, v31, vcc_lo
	v_cvt_f32_f64_e32 v4, v[4:5]
	v_cvt_f32_f64_e32 v5, v[10:11]
	;; [unrolled: 4-line block ×3, first 2 shown]
	v_cvt_f32_f64_e32 v22, v[24:25]
	v_cvt_f32_f64_e32 v23, v[0:1]
	;; [unrolled: 1-line block ×6, first 2 shown]
	v_add_co_u32 v12, vcc_lo, v10, s8
	v_add_co_ci_u32_e32 v13, vcc_lo, s0, v11, vcc_lo
	global_store_dwordx2 v[18:19], v[2:3], off
	v_add_co_u32 v2, vcc_lo, v12, s2
	v_add_co_ci_u32_e32 v3, vcc_lo, s1, v13, vcc_lo
	global_store_dwordx2 v[30:31], v[16:17], off
	;; [unrolled: 3-line block ×4, first 2 shown]
	global_store_dwordx2 v[12:13], v[20:21], off
	global_store_dwordx2 v[2:3], v[22:23], off
	;; [unrolled: 1-line block ×4, first 2 shown]
.LBB0_2:
	s_endpgm
	.section	.rodata,"a",@progbits
	.p2align	6, 0x0
	.amdhsa_kernel bluestein_single_fwd_len2560_dim1_sp_op_CI_CI
		.amdhsa_group_segment_fixed_size 20480
		.amdhsa_private_segment_fixed_size 0
		.amdhsa_kernarg_size 104
		.amdhsa_user_sgpr_count 6
		.amdhsa_user_sgpr_private_segment_buffer 1
		.amdhsa_user_sgpr_dispatch_ptr 0
		.amdhsa_user_sgpr_queue_ptr 0
		.amdhsa_user_sgpr_kernarg_segment_ptr 1
		.amdhsa_user_sgpr_dispatch_id 0
		.amdhsa_user_sgpr_flat_scratch_init 0
		.amdhsa_user_sgpr_private_segment_size 0
		.amdhsa_wavefront_size32 1
		.amdhsa_uses_dynamic_stack 0
		.amdhsa_system_sgpr_private_segment_wavefront_offset 0
		.amdhsa_system_sgpr_workgroup_id_x 1
		.amdhsa_system_sgpr_workgroup_id_y 0
		.amdhsa_system_sgpr_workgroup_id_z 0
		.amdhsa_system_sgpr_workgroup_info 0
		.amdhsa_system_vgpr_workitem_id 0
		.amdhsa_next_free_vgpr 188
		.amdhsa_next_free_sgpr 20
		.amdhsa_reserve_vcc 1
		.amdhsa_reserve_flat_scratch 0
		.amdhsa_float_round_mode_32 0
		.amdhsa_float_round_mode_16_64 0
		.amdhsa_float_denorm_mode_32 3
		.amdhsa_float_denorm_mode_16_64 3
		.amdhsa_dx10_clamp 1
		.amdhsa_ieee_mode 1
		.amdhsa_fp16_overflow 0
		.amdhsa_workgroup_processor_mode 1
		.amdhsa_memory_ordered 1
		.amdhsa_forward_progress 0
		.amdhsa_shared_vgpr_count 0
		.amdhsa_exception_fp_ieee_invalid_op 0
		.amdhsa_exception_fp_denorm_src 0
		.amdhsa_exception_fp_ieee_div_zero 0
		.amdhsa_exception_fp_ieee_overflow 0
		.amdhsa_exception_fp_ieee_underflow 0
		.amdhsa_exception_fp_ieee_inexact 0
		.amdhsa_exception_int_div_zero 0
	.end_amdhsa_kernel
	.text
.Lfunc_end0:
	.size	bluestein_single_fwd_len2560_dim1_sp_op_CI_CI, .Lfunc_end0-bluestein_single_fwd_len2560_dim1_sp_op_CI_CI
                                        ; -- End function
	.section	.AMDGPU.csdata,"",@progbits
; Kernel info:
; codeLenInByte = 16508
; NumSgprs: 22
; NumVgprs: 188
; ScratchSize: 0
; MemoryBound: 0
; FloatMode: 240
; IeeeMode: 1
; LDSByteSize: 20480 bytes/workgroup (compile time only)
; SGPRBlocks: 2
; VGPRBlocks: 23
; NumSGPRsForWavesPerEU: 22
; NumVGPRsForWavesPerEU: 188
; Occupancy: 5
; WaveLimiterHint : 1
; COMPUTE_PGM_RSRC2:SCRATCH_EN: 0
; COMPUTE_PGM_RSRC2:USER_SGPR: 6
; COMPUTE_PGM_RSRC2:TRAP_HANDLER: 0
; COMPUTE_PGM_RSRC2:TGID_X_EN: 1
; COMPUTE_PGM_RSRC2:TGID_Y_EN: 0
; COMPUTE_PGM_RSRC2:TGID_Z_EN: 0
; COMPUTE_PGM_RSRC2:TIDIG_COMP_CNT: 0
	.text
	.p2alignl 6, 3214868480
	.fill 48, 4, 3214868480
	.type	__hip_cuid_4a1f419c5626309f,@object ; @__hip_cuid_4a1f419c5626309f
	.section	.bss,"aw",@nobits
	.globl	__hip_cuid_4a1f419c5626309f
__hip_cuid_4a1f419c5626309f:
	.byte	0                               ; 0x0
	.size	__hip_cuid_4a1f419c5626309f, 1

	.ident	"AMD clang version 19.0.0git (https://github.com/RadeonOpenCompute/llvm-project roc-6.4.0 25133 c7fe45cf4b819c5991fe208aaa96edf142730f1d)"
	.section	".note.GNU-stack","",@progbits
	.addrsig
	.addrsig_sym __hip_cuid_4a1f419c5626309f
	.amdgpu_metadata
---
amdhsa.kernels:
  - .args:
      - .actual_access:  read_only
        .address_space:  global
        .offset:         0
        .size:           8
        .value_kind:     global_buffer
      - .actual_access:  read_only
        .address_space:  global
        .offset:         8
        .size:           8
        .value_kind:     global_buffer
      - .actual_access:  read_only
        .address_space:  global
        .offset:         16
        .size:           8
        .value_kind:     global_buffer
      - .actual_access:  read_only
        .address_space:  global
        .offset:         24
        .size:           8
        .value_kind:     global_buffer
      - .actual_access:  read_only
        .address_space:  global
        .offset:         32
        .size:           8
        .value_kind:     global_buffer
      - .offset:         40
        .size:           8
        .value_kind:     by_value
      - .address_space:  global
        .offset:         48
        .size:           8
        .value_kind:     global_buffer
      - .address_space:  global
        .offset:         56
        .size:           8
        .value_kind:     global_buffer
      - .address_space:  global
        .offset:         64
        .size:           8
        .value_kind:     global_buffer
      - .address_space:  global
        .offset:         72
        .size:           8
        .value_kind:     global_buffer
      - .offset:         80
        .size:           4
        .value_kind:     by_value
      - .address_space:  global
        .offset:         88
        .size:           8
        .value_kind:     global_buffer
      - .address_space:  global
        .offset:         96
        .size:           8
        .value_kind:     global_buffer
    .group_segment_fixed_size: 20480
    .kernarg_segment_align: 8
    .kernarg_segment_size: 104
    .language:       OpenCL C
    .language_version:
      - 2
      - 0
    .max_flat_workgroup_size: 128
    .name:           bluestein_single_fwd_len2560_dim1_sp_op_CI_CI
    .private_segment_fixed_size: 0
    .sgpr_count:     22
    .sgpr_spill_count: 0
    .symbol:         bluestein_single_fwd_len2560_dim1_sp_op_CI_CI.kd
    .uniform_work_group_size: 1
    .uses_dynamic_stack: false
    .vgpr_count:     188
    .vgpr_spill_count: 0
    .wavefront_size: 32
    .workgroup_processor_mode: 1
amdhsa.target:   amdgcn-amd-amdhsa--gfx1030
amdhsa.version:
  - 1
  - 2
...

	.end_amdgpu_metadata
